;; amdgpu-corpus repo=ROCm/rocFFT kind=compiled arch=gfx1201 opt=O3
	.text
	.amdgcn_target "amdgcn-amd-amdhsa--gfx1201"
	.amdhsa_code_object_version 6
	.protected	fft_rtc_fwd_len1078_factors_2_11_7_7_wgs_231_tpt_77_halfLds_sp_ip_CI_sbrr_dirReg ; -- Begin function fft_rtc_fwd_len1078_factors_2_11_7_7_wgs_231_tpt_77_halfLds_sp_ip_CI_sbrr_dirReg
	.globl	fft_rtc_fwd_len1078_factors_2_11_7_7_wgs_231_tpt_77_halfLds_sp_ip_CI_sbrr_dirReg
	.p2align	8
	.type	fft_rtc_fwd_len1078_factors_2_11_7_7_wgs_231_tpt_77_halfLds_sp_ip_CI_sbrr_dirReg,@function
fft_rtc_fwd_len1078_factors_2_11_7_7_wgs_231_tpt_77_halfLds_sp_ip_CI_sbrr_dirReg: ; @fft_rtc_fwd_len1078_factors_2_11_7_7_wgs_231_tpt_77_halfLds_sp_ip_CI_sbrr_dirReg
; %bb.0:
	s_clause 0x1
	s_load_b64 s[12:13], s[0:1], 0x18
	s_load_b128 s[4:7], s[0:1], 0x0
	v_mul_u32_u24_e32 v1, 0x354, v0
	v_mov_b32_e32 v5, 0
	s_load_b64 s[10:11], s[0:1], 0x50
	s_wait_kmcnt 0x0
	s_load_b64 s[8:9], s[12:13], 0x0
	v_lshrrev_b32_e32 v1, 16, v1
	v_cmp_lt_u64_e64 s2, s[6:7], 2
	s_delay_alu instid0(VALU_DEP_2) | instskip(SKIP_4) | instid1(VALU_DEP_1)
	v_mad_co_u64_u32 v[1:2], null, ttmp9, 3, v[1:2]
	v_mov_b32_e32 v3, 0
	v_mov_b32_e32 v4, 0
	;; [unrolled: 1-line block ×3, first 2 shown]
	s_and_b32 vcc_lo, exec_lo, s2
	v_dual_mov_b32 v10, v2 :: v_dual_mov_b32 v9, v1
	s_cbranch_vccnz .LBB0_8
; %bb.1:
	s_load_b64 s[2:3], s[0:1], 0x10
	v_dual_mov_b32 v3, 0 :: v_dual_mov_b32 v8, v2
	v_dual_mov_b32 v4, 0 :: v_dual_mov_b32 v7, v1
	s_add_nc_u64 s[14:15], s[12:13], 8
	s_mov_b64 s[16:17], 1
	s_wait_kmcnt 0x0
	s_add_nc_u64 s[18:19], s[2:3], 8
	s_mov_b32 s3, 0
.LBB0_2:                                ; =>This Inner Loop Header: Depth=1
	s_load_b64 s[20:21], s[18:19], 0x0
                                        ; implicit-def: $vgpr9_vgpr10
	s_mov_b32 s2, exec_lo
	s_wait_kmcnt 0x0
	v_or_b32_e32 v6, s21, v8
	s_delay_alu instid0(VALU_DEP_1)
	v_cmpx_ne_u64_e32 0, v[5:6]
	s_wait_alu 0xfffe
	s_xor_b32 s22, exec_lo, s2
	s_cbranch_execz .LBB0_4
; %bb.3:                                ;   in Loop: Header=BB0_2 Depth=1
	s_cvt_f32_u32 s2, s20
	s_cvt_f32_u32 s23, s21
	s_sub_nc_u64 s[26:27], 0, s[20:21]
	s_wait_alu 0xfffe
	s_delay_alu instid0(SALU_CYCLE_1) | instskip(SKIP_1) | instid1(SALU_CYCLE_2)
	s_fmamk_f32 s2, s23, 0x4f800000, s2
	s_wait_alu 0xfffe
	v_s_rcp_f32 s2, s2
	s_delay_alu instid0(TRANS32_DEP_1) | instskip(SKIP_1) | instid1(SALU_CYCLE_2)
	s_mul_f32 s2, s2, 0x5f7ffffc
	s_wait_alu 0xfffe
	s_mul_f32 s23, s2, 0x2f800000
	s_wait_alu 0xfffe
	s_delay_alu instid0(SALU_CYCLE_2) | instskip(SKIP_1) | instid1(SALU_CYCLE_2)
	s_trunc_f32 s23, s23
	s_wait_alu 0xfffe
	s_fmamk_f32 s2, s23, 0xcf800000, s2
	s_cvt_u32_f32 s25, s23
	s_wait_alu 0xfffe
	s_delay_alu instid0(SALU_CYCLE_1) | instskip(SKIP_1) | instid1(SALU_CYCLE_2)
	s_cvt_u32_f32 s24, s2
	s_wait_alu 0xfffe
	s_mul_u64 s[28:29], s[26:27], s[24:25]
	s_wait_alu 0xfffe
	s_mul_hi_u32 s31, s24, s29
	s_mul_i32 s30, s24, s29
	s_mul_hi_u32 s2, s24, s28
	s_mul_i32 s33, s25, s28
	s_wait_alu 0xfffe
	s_add_nc_u64 s[30:31], s[2:3], s[30:31]
	s_mul_hi_u32 s23, s25, s28
	s_mul_hi_u32 s34, s25, s29
	s_add_co_u32 s2, s30, s33
	s_wait_alu 0xfffe
	s_add_co_ci_u32 s2, s31, s23
	s_mul_i32 s28, s25, s29
	s_add_co_ci_u32 s29, s34, 0
	s_wait_alu 0xfffe
	s_add_nc_u64 s[28:29], s[2:3], s[28:29]
	s_wait_alu 0xfffe
	v_add_co_u32 v2, s2, s24, s28
	s_delay_alu instid0(VALU_DEP_1) | instskip(SKIP_1) | instid1(VALU_DEP_1)
	s_cmp_lg_u32 s2, 0
	s_add_co_ci_u32 s25, s25, s29
	v_readfirstlane_b32 s24, v2
	s_wait_alu 0xfffe
	s_delay_alu instid0(VALU_DEP_1)
	s_mul_u64 s[26:27], s[26:27], s[24:25]
	s_wait_alu 0xfffe
	s_mul_hi_u32 s29, s24, s27
	s_mul_i32 s28, s24, s27
	s_mul_hi_u32 s2, s24, s26
	s_mul_i32 s30, s25, s26
	s_wait_alu 0xfffe
	s_add_nc_u64 s[28:29], s[2:3], s[28:29]
	s_mul_hi_u32 s23, s25, s26
	s_mul_hi_u32 s24, s25, s27
	s_wait_alu 0xfffe
	s_add_co_u32 s2, s28, s30
	s_add_co_ci_u32 s2, s29, s23
	s_mul_i32 s26, s25, s27
	s_add_co_ci_u32 s27, s24, 0
	s_wait_alu 0xfffe
	s_add_nc_u64 s[26:27], s[2:3], s[26:27]
	s_wait_alu 0xfffe
	v_add_co_u32 v2, s2, v2, s26
	s_delay_alu instid0(VALU_DEP_1) | instskip(SKIP_1) | instid1(VALU_DEP_1)
	s_cmp_lg_u32 s2, 0
	s_add_co_ci_u32 s2, s25, s27
	v_mul_hi_u32 v6, v7, v2
	s_wait_alu 0xfffe
	v_mad_co_u64_u32 v[9:10], null, v7, s2, 0
	v_mad_co_u64_u32 v[11:12], null, v8, v2, 0
	;; [unrolled: 1-line block ×3, first 2 shown]
	s_delay_alu instid0(VALU_DEP_3) | instskip(SKIP_1) | instid1(VALU_DEP_4)
	v_add_co_u32 v2, vcc_lo, v6, v9
	s_wait_alu 0xfffd
	v_add_co_ci_u32_e32 v6, vcc_lo, 0, v10, vcc_lo
	s_delay_alu instid0(VALU_DEP_2) | instskip(SKIP_1) | instid1(VALU_DEP_2)
	v_add_co_u32 v2, vcc_lo, v2, v11
	s_wait_alu 0xfffd
	v_add_co_ci_u32_e32 v2, vcc_lo, v6, v12, vcc_lo
	s_wait_alu 0xfffd
	v_add_co_ci_u32_e32 v6, vcc_lo, 0, v14, vcc_lo
	s_delay_alu instid0(VALU_DEP_2) | instskip(SKIP_1) | instid1(VALU_DEP_2)
	v_add_co_u32 v2, vcc_lo, v2, v13
	s_wait_alu 0xfffd
	v_add_co_ci_u32_e32 v6, vcc_lo, 0, v6, vcc_lo
	s_delay_alu instid0(VALU_DEP_2) | instskip(SKIP_1) | instid1(VALU_DEP_3)
	v_mul_lo_u32 v11, s21, v2
	v_mad_co_u64_u32 v[9:10], null, s20, v2, 0
	v_mul_lo_u32 v12, s20, v6
	s_delay_alu instid0(VALU_DEP_2) | instskip(NEXT) | instid1(VALU_DEP_2)
	v_sub_co_u32 v9, vcc_lo, v7, v9
	v_add3_u32 v10, v10, v12, v11
	s_delay_alu instid0(VALU_DEP_1) | instskip(SKIP_1) | instid1(VALU_DEP_1)
	v_sub_nc_u32_e32 v11, v8, v10
	s_wait_alu 0xfffd
	v_subrev_co_ci_u32_e64 v11, s2, s21, v11, vcc_lo
	v_add_co_u32 v12, s2, v2, 2
	s_wait_alu 0xf1ff
	v_add_co_ci_u32_e64 v13, s2, 0, v6, s2
	v_sub_co_u32 v14, s2, v9, s20
	v_sub_co_ci_u32_e32 v10, vcc_lo, v8, v10, vcc_lo
	s_wait_alu 0xf1ff
	v_subrev_co_ci_u32_e64 v11, s2, 0, v11, s2
	s_delay_alu instid0(VALU_DEP_3) | instskip(NEXT) | instid1(VALU_DEP_3)
	v_cmp_le_u32_e32 vcc_lo, s20, v14
	v_cmp_eq_u32_e64 s2, s21, v10
	s_wait_alu 0xfffd
	v_cndmask_b32_e64 v14, 0, -1, vcc_lo
	v_cmp_le_u32_e32 vcc_lo, s21, v11
	s_wait_alu 0xfffd
	v_cndmask_b32_e64 v15, 0, -1, vcc_lo
	v_cmp_le_u32_e32 vcc_lo, s20, v9
	;; [unrolled: 3-line block ×3, first 2 shown]
	s_wait_alu 0xfffd
	v_cndmask_b32_e64 v16, 0, -1, vcc_lo
	v_cmp_eq_u32_e32 vcc_lo, s21, v11
	s_wait_alu 0xf1ff
	s_delay_alu instid0(VALU_DEP_2)
	v_cndmask_b32_e64 v9, v16, v9, s2
	s_wait_alu 0xfffd
	v_cndmask_b32_e32 v11, v15, v14, vcc_lo
	v_add_co_u32 v14, vcc_lo, v2, 1
	s_wait_alu 0xfffd
	v_add_co_ci_u32_e32 v15, vcc_lo, 0, v6, vcc_lo
	s_delay_alu instid0(VALU_DEP_3) | instskip(SKIP_1) | instid1(VALU_DEP_2)
	v_cmp_ne_u32_e32 vcc_lo, 0, v11
	s_wait_alu 0xfffd
	v_dual_cndmask_b32 v10, v15, v13 :: v_dual_cndmask_b32 v11, v14, v12
	v_cmp_ne_u32_e32 vcc_lo, 0, v9
	s_wait_alu 0xfffd
	s_delay_alu instid0(VALU_DEP_2) | instskip(NEXT) | instid1(VALU_DEP_3)
	v_cndmask_b32_e32 v10, v6, v10, vcc_lo
	v_cndmask_b32_e32 v9, v2, v11, vcc_lo
.LBB0_4:                                ;   in Loop: Header=BB0_2 Depth=1
	s_wait_alu 0xfffe
	s_and_not1_saveexec_b32 s2, s22
	s_cbranch_execz .LBB0_6
; %bb.5:                                ;   in Loop: Header=BB0_2 Depth=1
	v_cvt_f32_u32_e32 v2, s20
	s_sub_co_i32 s22, 0, s20
	s_delay_alu instid0(VALU_DEP_1) | instskip(NEXT) | instid1(TRANS32_DEP_1)
	v_rcp_iflag_f32_e32 v2, v2
	v_mul_f32_e32 v2, 0x4f7ffffe, v2
	s_delay_alu instid0(VALU_DEP_1) | instskip(SKIP_1) | instid1(VALU_DEP_1)
	v_cvt_u32_f32_e32 v2, v2
	s_wait_alu 0xfffe
	v_mul_lo_u32 v6, s22, v2
	s_delay_alu instid0(VALU_DEP_1) | instskip(NEXT) | instid1(VALU_DEP_1)
	v_mul_hi_u32 v6, v2, v6
	v_add_nc_u32_e32 v2, v2, v6
	s_delay_alu instid0(VALU_DEP_1) | instskip(NEXT) | instid1(VALU_DEP_1)
	v_mul_hi_u32 v2, v7, v2
	v_mul_lo_u32 v6, v2, s20
	v_add_nc_u32_e32 v9, 1, v2
	s_delay_alu instid0(VALU_DEP_2) | instskip(NEXT) | instid1(VALU_DEP_1)
	v_sub_nc_u32_e32 v6, v7, v6
	v_subrev_nc_u32_e32 v10, s20, v6
	v_cmp_le_u32_e32 vcc_lo, s20, v6
	s_wait_alu 0xfffd
	s_delay_alu instid0(VALU_DEP_2) | instskip(SKIP_2) | instid1(VALU_DEP_3)
	v_cndmask_b32_e32 v6, v6, v10, vcc_lo
	v_mov_b32_e32 v10, v5
	v_cndmask_b32_e32 v2, v2, v9, vcc_lo
	v_cmp_le_u32_e32 vcc_lo, s20, v6
	s_delay_alu instid0(VALU_DEP_2) | instskip(SKIP_1) | instid1(VALU_DEP_1)
	v_add_nc_u32_e32 v9, 1, v2
	s_wait_alu 0xfffd
	v_cndmask_b32_e32 v9, v2, v9, vcc_lo
.LBB0_6:                                ;   in Loop: Header=BB0_2 Depth=1
	s_wait_alu 0xfffe
	s_or_b32 exec_lo, exec_lo, s2
	s_load_b64 s[22:23], s[14:15], 0x0
	v_mul_lo_u32 v2, v10, s20
	v_mul_lo_u32 v6, v9, s21
	v_mad_co_u64_u32 v[11:12], null, v9, s20, 0
	s_add_nc_u64 s[16:17], s[16:17], 1
	s_add_nc_u64 s[14:15], s[14:15], 8
	s_wait_alu 0xfffe
	v_cmp_ge_u64_e64 s2, s[16:17], s[6:7]
	s_add_nc_u64 s[18:19], s[18:19], 8
	s_delay_alu instid0(VALU_DEP_2) | instskip(NEXT) | instid1(VALU_DEP_3)
	v_add3_u32 v2, v12, v6, v2
	v_sub_co_u32 v6, vcc_lo, v7, v11
	s_wait_alu 0xfffd
	s_delay_alu instid0(VALU_DEP_2) | instskip(SKIP_3) | instid1(VALU_DEP_2)
	v_sub_co_ci_u32_e32 v2, vcc_lo, v8, v2, vcc_lo
	s_and_b32 vcc_lo, exec_lo, s2
	s_wait_kmcnt 0x0
	v_mul_lo_u32 v7, s23, v6
	v_mul_lo_u32 v2, s22, v2
	v_mad_co_u64_u32 v[3:4], null, s22, v6, v[3:4]
	s_delay_alu instid0(VALU_DEP_1)
	v_add3_u32 v4, v7, v4, v2
	s_wait_alu 0xfffe
	s_cbranch_vccnz .LBB0_8
; %bb.7:                                ;   in Loop: Header=BB0_2 Depth=1
	v_dual_mov_b32 v7, v9 :: v_dual_mov_b32 v8, v10
	s_branch .LBB0_2
.LBB0_8:
	s_lshl_b64 s[2:3], s[6:7], 3
	v_mul_hi_u32 v2, 0x3531ded, v0
	s_wait_alu 0xfffe
	s_add_nc_u64 s[2:3], s[12:13], s[2:3]
	s_load_b64 s[0:1], s[0:1], 0x20
	s_load_b64 s[2:3], s[2:3], 0x0
                                        ; implicit-def: $vgpr93
                                        ; implicit-def: $vgpr99
                                        ; implicit-def: $vgpr98
                                        ; implicit-def: $vgpr97
	s_delay_alu instid0(VALU_DEP_1) | instskip(NEXT) | instid1(VALU_DEP_1)
	v_mul_u32_u24_e32 v2, 0x4d, v2
	v_sub_nc_u32_e32 v86, v0, v2
	s_delay_alu instid0(VALU_DEP_1)
	v_add_nc_u32_e32 v85, 0x4d, v86
	v_add_nc_u32_e32 v87, 0x9a, v86
	;; [unrolled: 1-line block ×4, first 2 shown]
	s_wait_kmcnt 0x0
	v_cmp_gt_u64_e32 vcc_lo, s[0:1], v[9:10]
	v_mul_lo_u32 v0, s2, v10
	v_mul_lo_u32 v2, s3, v9
	v_mad_co_u64_u32 v[4:5], null, s2, v9, v[3:4]
	v_cmp_le_u64_e64 s0, s[0:1], v[9:10]
                                        ; implicit-def: $sgpr2_sgpr3
	s_delay_alu instid0(VALU_DEP_2) | instskip(NEXT) | instid1(VALU_DEP_2)
	v_add3_u32 v5, v2, v5, v0
	s_and_saveexec_b32 s1, s0
	s_wait_alu 0xfffe
	s_xor_b32 s0, exec_lo, s1
; %bb.9:
	v_add_nc_u32_e32 v93, 0x4d, v86
	v_add_nc_u32_e32 v99, 0x9a, v86
	;; [unrolled: 1-line block ×4, first 2 shown]
	s_mov_b64 s[2:3], 0
; %bb.10:
	s_wait_alu 0xfffe
	s_or_saveexec_b32 s1, s0
	v_dual_mov_b32 v11, s3 :: v_dual_add_nc_u32 v90, 0x302, v86
	v_dual_mov_b32 v10, s2 :: v_dual_mov_b32 v13, s3
	v_dual_mov_b32 v12, s2 :: v_dual_mov_b32 v19, s3
	;; [unrolled: 1-line block ×3, first 2 shown]
	v_lshlrev_b64_e32 v[40:41], 3, v[4:5]
	v_dual_mov_b32 v5, s3 :: v_dual_add_nc_u32 v92, 0x268, v86
	v_dual_mov_b32 v20, s2 :: v_dual_mov_b32 v23, s3
	v_dual_mov_b32 v2, s2 :: v_dual_mov_b32 v3, s3
	v_dual_mov_b32 v4, s2 :: v_dual_add_nc_u32 v91, 0x39c, v86
	v_mov_b32_e32 v22, s2
                                        ; implicit-def: $vgpr7
                                        ; implicit-def: $vgpr9
                                        ; implicit-def: $vgpr15
                                        ; implicit-def: $vgpr17
                                        ; implicit-def: $vgpr25
                                        ; implicit-def: $vgpr27
                                        ; implicit-def: $vgpr29
	s_wait_alu 0xfffe
	s_xor_b32 exec_lo, exec_lo, s1
	s_cbranch_execz .LBB0_12
; %bb.11:
	v_add_nc_u32_e32 v12, 0x21b, v86
	v_mad_co_u64_u32 v[2:3], null, s8, v86, 0
	v_mad_co_u64_u32 v[6:7], null, s8, v85, 0
	s_delay_alu instid0(VALU_DEP_3) | instskip(SKIP_1) | instid1(VALU_DEP_4)
	v_mad_co_u64_u32 v[4:5], null, s8, v12, 0
	v_mad_co_u64_u32 v[8:9], null, s8, v92, 0
	v_mov_b32_e32 v0, v3
	v_add_co_u32 v35, s0, s10, v40
	v_add_nc_u32_e32 v19, 0x2b5, v86
	v_mov_b32_e32 v3, v5
	v_mov_b32_e32 v5, v7
	v_mad_co_u64_u32 v[10:11], null, s9, v86, v[0:1]
	s_wait_alu 0xf1ff
	v_add_co_ci_u32_e64 v36, s0, s11, v41, s0
	v_mad_co_u64_u32 v[11:12], null, s9, v12, v[3:4]
	v_mad_co_u64_u32 v[12:13], null, s9, v85, v[5:6]
	s_delay_alu instid0(VALU_DEP_4) | instskip(SKIP_1) | instid1(VALU_DEP_4)
	v_dual_mov_b32 v3, v10 :: v_dual_mov_b32 v0, v9
	v_mad_co_u64_u32 v[13:14], null, s8, v87, 0
	v_mov_b32_e32 v5, v11
	s_delay_alu instid0(VALU_DEP_3)
	v_lshlrev_b64_e32 v[2:3], 3, v[2:3]
	v_dual_mov_b32 v7, v12 :: v_dual_add_nc_u32 v22, 0xe7, v86
	v_mad_co_u64_u32 v[9:10], null, s9, v92, v[0:1]
	v_mov_b32_e32 v0, v14
	v_lshlrev_b64_e32 v[4:5], 3, v[4:5]
	v_add_co_u32 v2, s0, v35, v2
	v_lshlrev_b64_e32 v[6:7], 3, v[6:7]
	v_mad_co_u64_u32 v[10:11], null, s8, v19, 0
	s_wait_alu 0xf1ff
	v_add_co_ci_u32_e64 v3, s0, v36, v3, s0
	v_add_co_u32 v4, s0, v35, v4
	s_wait_alu 0xf1ff
	v_add_co_ci_u32_e64 v5, s0, v36, v5, s0
	v_add_co_u32 v15, s0, v35, v6
	s_wait_alu 0xf1ff
	v_add_co_ci_u32_e64 v16, s0, v36, v7, s0
	v_lshlrev_b64_e32 v[6:7], 3, v[8:9]
	v_mad_co_u64_u32 v[8:9], null, s9, v87, v[0:1]
	v_mov_b32_e32 v0, v11
	v_mad_co_u64_u32 v[17:18], null, s8, v22, 0
	s_delay_alu instid0(VALU_DEP_4) | instskip(NEXT) | instid1(VALU_DEP_3)
	v_add_co_u32 v11, s0, v35, v6
	v_mad_co_u64_u32 v[19:20], null, s9, v19, v[0:1]
	v_mov_b32_e32 v14, v8
	v_mad_co_u64_u32 v[20:21], null, s8, v90, 0
	v_mov_b32_e32 v0, v18
	s_wait_alu 0xf1ff
	v_add_co_ci_u32_e64 v12, s0, v36, v7, s0
	s_clause 0x3
	global_load_b64 v[2:3], v[2:3], off
	global_load_b64 v[6:7], v[4:5], off
	;; [unrolled: 1-line block ×4, first 2 shown]
	v_mov_b32_e32 v11, v19
	v_lshlrev_b64_e32 v[12:13], 3, v[13:14]
	v_mad_co_u64_u32 v[14:15], null, s9, v22, v[0:1]
	v_dual_mov_b32 v0, v21 :: v_dual_add_nc_u32 v31, 0x181, v86
	s_delay_alu instid0(VALU_DEP_4) | instskip(NEXT) | instid1(VALU_DEP_4)
	v_lshlrev_b64_e32 v[10:11], 3, v[10:11]
	v_add_co_u32 v12, s0, v35, v12
	v_mad_co_u64_u32 v[22:23], null, s8, v88, 0
	v_mov_b32_e32 v18, v14
	v_mad_co_u64_u32 v[14:15], null, s9, v90, v[0:1]
	s_wait_alu 0xf1ff
	v_add_co_ci_u32_e64 v13, s0, v36, v13, s0
	v_add_co_u32 v15, s0, v35, v10
	v_add_nc_u32_e32 v30, 0x34f, v86
	s_wait_alu 0xf1ff
	v_add_co_ci_u32_e64 v16, s0, v36, v11, s0
	v_lshlrev_b64_e32 v[10:11], 3, v[17:18]
	v_dual_mov_b32 v21, v14 :: v_dual_mov_b32 v0, v23
	v_add_nc_u32_e32 v37, 0x3e9, v86
	v_mad_co_u64_u32 v[18:19], null, s8, v30, 0
	s_delay_alu instid0(VALU_DEP_4)
	v_add_co_u32 v24, s0, v35, v10
	s_wait_alu 0xf1ff
	v_add_co_ci_u32_e64 v25, s0, v36, v11, s0
	v_lshlrev_b64_e32 v[10:11], 3, v[20:21]
	v_mad_co_u64_u32 v[20:21], null, s9, v88, v[0:1]
	v_mov_b32_e32 v0, v19
	v_mad_co_u64_u32 v[26:27], null, s8, v31, 0
	s_delay_alu instid0(VALU_DEP_4)
	v_add_co_u32 v28, s0, v35, v10
	s_wait_alu 0xf1ff
	v_add_co_ci_u32_e64 v29, s0, v36, v11, s0
	v_mov_b32_e32 v23, v20
	v_mad_co_u64_u32 v[19:20], null, s9, v30, v[0:1]
	v_mad_co_u64_u32 v[20:21], null, s8, v91, 0
	v_mov_b32_e32 v0, v27
	s_clause 0x3
	global_load_b64 v[10:11], v[12:13], off
	global_load_b64 v[14:15], v[15:16], off
	;; [unrolled: 1-line block ×4, first 2 shown]
	v_mad_co_u64_u32 v[28:29], null, s8, v89, 0
	v_mov_b32_e32 v97, v89
	v_mad_co_u64_u32 v[24:25], null, s9, v31, v[0:1]
	v_mov_b32_e32 v0, v21
	v_lshlrev_b64_e32 v[22:23], 3, v[22:23]
	v_lshlrev_b64_e32 v[18:19], 3, v[18:19]
	v_mov_b32_e32 v99, v87
	v_mov_b32_e32 v93, v85
	v_mad_co_u64_u32 v[30:31], null, s9, v91, v[0:1]
	v_mad_co_u64_u32 v[31:32], null, s8, v37, 0
	v_mov_b32_e32 v0, v29
	v_add_co_u32 v22, s0, v35, v22
	v_mov_b32_e32 v27, v24
	s_wait_alu 0xf1ff
	v_add_co_ci_u32_e64 v23, s0, v36, v23, s0
	v_mad_co_u64_u32 v[24:25], null, s9, v89, v[0:1]
	v_mov_b32_e32 v0, v32
	v_add_co_u32 v33, s0, v35, v18
	v_mov_b32_e32 v21, v30
	s_wait_alu 0xf1ff
	v_add_co_ci_u32_e64 v34, s0, v36, v19, s0
	v_lshlrev_b64_e32 v[18:19], 3, v[26:27]
	v_mad_co_u64_u32 v[25:26], null, s9, v37, v[0:1]
	v_lshlrev_b64_e32 v[20:21], 3, v[20:21]
	v_dual_mov_b32 v29, v24 :: v_dual_mov_b32 v98, v88
	s_delay_alu instid0(VALU_DEP_4)
	v_add_co_u32 v26, s0, v35, v18
	s_wait_alu 0xf1ff
	v_add_co_ci_u32_e64 v27, s0, v36, v19, s0
	v_mov_b32_e32 v32, v25
	v_lshlrev_b64_e32 v[18:19], 3, v[28:29]
	v_add_co_u32 v28, s0, v35, v20
	s_wait_alu 0xf1ff
	v_add_co_ci_u32_e64 v29, s0, v36, v21, s0
	v_lshlrev_b64_e32 v[20:21], 3, v[31:32]
	s_delay_alu instid0(VALU_DEP_4) | instskip(SKIP_2) | instid1(VALU_DEP_3)
	v_add_co_u32 v30, s0, v35, v18
	s_wait_alu 0xf1ff
	v_add_co_ci_u32_e64 v31, s0, v36, v19, s0
	v_add_co_u32 v35, s0, v35, v20
	s_wait_alu 0xf1ff
	v_add_co_ci_u32_e64 v36, s0, v36, v21, s0
	s_clause 0x5
	global_load_b64 v[18:19], v[22:23], off
	global_load_b64 v[24:25], v[33:34], off
	global_load_b64 v[20:21], v[26:27], off
	global_load_b64 v[26:27], v[28:29], off
	global_load_b64 v[22:23], v[30:31], off
	global_load_b64 v[28:29], v[35:36], off
.LBB0_12:
	s_or_b32 exec_lo, exec_lo, s1
	v_mul_hi_u32 v0, 0xaaaaaaab, v1
	s_wait_loadcnt 0x0
	v_sub_f32_e32 v46, v22, v28
	v_dual_sub_f32 v39, v18, v24 :: v_dual_sub_f32 v44, v20, v26
	v_cmp_gt_u32_e64 s0, 21, v86
	v_lshlrev_b32_e32 v100, 2, v93
                                        ; implicit-def: $vgpr61
                                        ; implicit-def: $vgpr57
                                        ; implicit-def: $vgpr54
                                        ; implicit-def: $vgpr60
	s_delay_alu instid0(VALU_DEP_3) | instskip(SKIP_2) | instid1(VALU_DEP_2)
	v_fma_f32 v38, v18, 2.0, -v39
	v_lshrrev_b32_e32 v0, 1, v0
	v_fma_f32 v43, v20, 2.0, -v44
	v_lshl_add_u32 v0, v0, 1, v0
	s_delay_alu instid0(VALU_DEP_1) | instskip(SKIP_2) | instid1(VALU_DEP_3)
	v_sub_nc_u32_e32 v0, v1, v0
	v_lshlrev_b32_e32 v1, 2, v86
	v_fma_f32 v45, v22, 2.0, -v46
	v_mul_u32_u24_e32 v0, 0x436, v0
	s_delay_alu instid0(VALU_DEP_1) | instskip(SKIP_1) | instid1(VALU_DEP_2)
	v_dual_sub_f32 v31, v2, v6 :: v_dual_lshlrev_b32 v96, 2, v0
	v_sub_f32_e32 v35, v10, v14
	v_fma_f32 v30, v2, 2.0, -v31
	s_delay_alu instid0(VALU_DEP_3)
	v_add_nc_u32_e32 v0, 0, v96
	v_add3_u32 v95, 0, v1, v96
	v_sub_f32_e32 v33, v4, v8
	v_sub_f32_e32 v37, v12, v16
	v_fma_f32 v34, v10, 2.0, -v35
	v_add_nc_u32_e32 v94, v0, v1
	v_add_nc_u32_e32 v2, 0xa00, v95
	v_fma_f32 v32, v4, 2.0, -v33
	v_lshl_add_u32 v4, v86, 3, v0
	v_lshl_add_u32 v14, v93, 3, v0
	;; [unrolled: 1-line block ×5, first 2 shown]
	v_add_nc_u32_e32 v0, 0x400, v95
	v_add_nc_u32_e32 v1, 0x600, v95
	v_fma_f32 v36, v12, 2.0, -v37
	v_add_nc_u32_e32 v12, 0xc00, v95
	ds_store_b64 v4, v[30:31]
	ds_store_b64 v14, v[32:33]
	;; [unrolled: 1-line block ×3, first 2 shown]
	ds_store_b64 v4, v[36:37] offset:1848
	ds_store_b64 v8, v[38:39]
	ds_store_b64 v4, v[43:44] offset:3080
	ds_store_b64 v6, v[45:46]
	global_wb scope:SCOPE_SE
	s_wait_dscnt 0x0
	s_barrier_signal -1
	s_barrier_wait -1
	global_inv scope:SCOPE_SE
	ds_load_b32 v103, v94
	ds_load_2addr_b32 v[63:64], v95 offset0:98 offset1:196
	ds_load_2addr_b32 v[55:56], v0 offset0:38 offset1:136
	;; [unrolled: 1-line block ×5, first 2 shown]
	s_and_saveexec_b32 s1, s0
	s_cbranch_execz .LBB0_14
; %bb.13:
	v_add3_u32 v16, 0, v100, v96
	v_add_nc_u32_e32 v18, 0x200, v95
	v_add_nc_u32_e32 v20, 0x800, v95
	v_add_nc_u32_e32 v22, 0xe00, v95
	ds_load_b32 v44, v16
	ds_load_2addr_b32 v[45:46], v18 offset0:47 offset1:145
	ds_load_2addr_b32 v[61:62], v0 offset0:115 offset1:213
	;; [unrolled: 1-line block ×5, first 2 shown]
.LBB0_14:
	s_wait_alu 0xfffe
	s_or_b32 exec_lo, exec_lo, s1
	v_sub_f32_e32 v16, v3, v7
	v_sub_f32_e32 v18, v5, v9
	;; [unrolled: 1-line block ×4, first 2 shown]
	v_dual_sub_f32 v20, v19, v25 :: v_dual_sub_f32 v43, v21, v27
	v_fma_f32 v15, v3, 2.0, -v16
	v_sub_f32_e32 v66, v23, v29
	v_fma_f32 v17, v5, 2.0, -v18
	v_fma_f32 v25, v11, 2.0, -v26
	;; [unrolled: 1-line block ×6, first 2 shown]
	global_wb scope:SCOPE_SE
	s_wait_dscnt 0x0
	s_barrier_signal -1
	s_barrier_wait -1
	global_inv scope:SCOPE_SE
	ds_store_b64 v4, v[15:16]
	ds_store_b64 v14, v[17:18]
	;; [unrolled: 1-line block ×3, first 2 shown]
	ds_store_b64 v4, v[27:28] offset:1848
	ds_store_b64 v8, v[19:20]
	ds_store_b64 v4, v[42:43] offset:3080
	ds_store_b64 v6, v[65:66]
	global_wb scope:SCOPE_SE
	s_wait_dscnt 0x0
	s_barrier_signal -1
	s_barrier_wait -1
	global_inv scope:SCOPE_SE
	ds_load_b32 v101, v94
	ds_load_2addr_b32 v[83:84], v95 offset0:98 offset1:196
	ds_load_2addr_b32 v[73:74], v0 offset0:38 offset1:136
	;; [unrolled: 1-line block ×5, first 2 shown]
                                        ; implicit-def: $vgpr81
                                        ; implicit-def: $vgpr77
                                        ; implicit-def: $vgpr76
                                        ; implicit-def: $vgpr80
	s_and_saveexec_b32 s1, s0
	s_cbranch_execz .LBB0_16
; %bb.15:
	v_add3_u32 v0, 0, v100, v96
	v_add_nc_u32_e32 v1, 0x200, v95
	v_add_nc_u32_e32 v2, 0x400, v95
	;; [unrolled: 1-line block ×4, first 2 shown]
	ds_load_b32 v43, v0
	v_add_nc_u32_e32 v0, 0xe00, v95
	ds_load_2addr_b32 v[65:66], v1 offset0:47 offset1:145
	ds_load_2addr_b32 v[81:82], v2 offset0:115 offset1:213
	;; [unrolled: 1-line block ×5, first 2 shown]
.LBB0_16:
	s_wait_alu 0xfffe
	s_or_b32 exec_lo, exec_lo, s1
	v_and_b32_e32 v102, 1, v86
	v_lshrrev_b32_e32 v104, 1, v86
	s_delay_alu instid0(VALU_DEP_2) | instskip(NEXT) | instid1(VALU_DEP_2)
	v_mul_u32_u24_e32 v0, 10, v102
	v_mul_u32_u24_e32 v104, 22, v104
	s_delay_alu instid0(VALU_DEP_2)
	v_lshlrev_b32_e32 v8, 3, v0
	s_clause 0x1
	global_load_b128 v[4:7], v8, s[4:5]
	global_load_b128 v[0:3], v8, s[4:5] offset:16
	s_wait_loadcnt_dscnt 0x104
	v_dual_mul_f32 v111, v84, v7 :: v_dual_and_b32 v42, 1, v93
	s_wait_loadcnt_dscnt 0x3
	v_mul_f32_e32 v113, v74, v3
	s_clause 0x1
	global_load_b128 v[36:39], v8, s[4:5] offset:32
	global_load_b128 v[28:31], v8, s[4:5] offset:48
	v_mul_u32_u24_e32 v9, 10, v42
	v_dual_mul_f32 v109, v63, v5 :: v_dual_mul_f32 v108, v64, v7
	v_or_b32_e32 v104, v104, v102
	v_dual_mul_f32 v110, v83, v5 :: v_dual_mul_f32 v5, v56, v3
	s_delay_alu instid0(VALU_DEP_4)
	v_lshlrev_b32_e32 v9, 3, v9
	s_clause 0x5
	global_load_b128 v[24:27], v8, s[4:5] offset:64
	global_load_b128 v[32:35], v9, s[4:5]
	global_load_b128 v[20:23], v9, s[4:5] offset:16
	global_load_b128 v[16:19], v9, s[4:5] offset:32
	;; [unrolled: 1-line block ×4, first 2 shown]
	v_dual_mul_f32 v105, v55, v1 :: v_dual_lshlrev_b32 v104, 2, v104
	v_mul_f32_e32 v112, v73, v1
	v_fma_f32 v110, v63, v4, -v110
	v_fma_f32 v63, v64, v6, -v111
	v_lshrrev_b32_e32 v102, 1, v93
	v_add3_u32 v104, 0, v104, v96
	global_wb scope:SCOPE_SE
	s_wait_loadcnt_dscnt 0x0
	s_barrier_signal -1
	s_barrier_wait -1
	global_inv scope:SCOPE_SE
	v_fmac_f32_e32 v108, v84, v6
	v_dual_mul_f32 v115, v72, v39 :: v_dual_mul_f32 v114, v71, v37
	v_mul_f32_e32 v3, v52, v39
	v_mul_f32_e32 v1, v51, v37
	v_dual_mul_f32 v116, v69, v29 :: v_dual_mul_f32 v117, v70, v31
	v_mul_f32_e32 v7, v49, v29
	v_dual_mul_f32 v39, v50, v31 :: v_dual_mul_f32 v118, v67, v25
	v_dual_mul_f32 v107, v47, v25 :: v_dual_mul_f32 v106, v48, v27
	;; [unrolled: 1-line block ×3, first 2 shown]
	v_fmac_f32_e32 v1, v71, v36
	v_fmac_f32_e32 v3, v72, v38
	v_dual_mul_f32 v119, v68, v27 :: v_dual_mul_f32 v120, v65, v33
	v_dual_mul_f32 v37, v45, v33 :: v_dual_mul_f32 v84, v80, v15
	;; [unrolled: 1-line block ×3, first 2 shown]
	v_mul_f32_e32 v25, v61, v21
	v_dual_mul_f32 v123, v82, v23 :: v_dual_fmac_f32 v106, v68, v26
	v_mul_f32_e32 v64, v78, v19
	v_fma_f32 v55, v55, v0, -v112
	v_fmac_f32_e32 v5, v74, v2
	v_mul_f32_e32 v29, v54, v11
	v_fma_f32 v6, v49, v28, -v116
	v_fmac_f32_e32 v7, v69, v28
	v_fmac_f32_e32 v107, v67, v24
	;; [unrolled: 1-line block ×3, first 2 shown]
	v_fma_f32 v4, v56, v2, -v113
	v_mul_f32_e32 v56, v76, v11
	v_fma_f32 v11, v47, v24, -v118
	v_mul_f32_e32 v31, v53, v9
	v_fma_f32 v28, v46, v34, -v121
	v_dual_sub_f32 v46, v1, v3 :: v_dual_mul_f32 v111, v75, v9
	v_fma_f32 v9, v50, v30, -v117
	v_mul_f32_e32 v19, v58, v19
	v_mul_f32_e32 v27, v60, v15
	v_fma_f32 v35, v45, v32, -v120
	v_fma_f32 v15, v58, v18, -v64
	v_fmac_f32_e32 v29, v76, v10
	v_mul_f32_e32 v68, 0xbf4178ce, v46
	v_dual_fmac_f32 v19, v78, v18 :: v_dual_sub_f32 v18, v108, v107
	v_mul_f32_e32 v21, v62, v23
	v_fmac_f32_e32 v37, v65, v32
	v_fma_f32 v32, v54, v10, -v56
	v_sub_f32_e32 v10, v109, v106
	v_fmac_f32_e32 v105, v73, v0
	v_fma_f32 v0, v51, v36, -v114
	v_fma_f32 v36, v48, v26, -v119
	v_mul_f32_e32 v17, v57, v17
	v_fma_f32 v2, v52, v38, -v115
	v_mul_f32_e32 v50, 0xbf7d64f0, v10
	v_fmac_f32_e32 v39, v70, v30
	v_mul_f32_e32 v51, 0xbf4178ce, v10
	v_mul_f32_e32 v54, 0x3e903f40, v18
	v_sub_f32_e32 v38, v5, v7
	v_fma_f32 v30, v53, v8, -v111
	v_fmac_f32_e32 v31, v75, v8
	v_dual_add_f32 v8, v110, v36 :: v_dual_mul_f32 v23, v59, v13
	v_fma_f32 v24, v61, v20, -v122
	v_mul_f32_e32 v48, 0xbf0a6770, v10
	v_mul_f32_e32 v52, 0xbf68dda4, v18
	s_delay_alu instid0(VALU_DEP_4)
	v_fma_f32 v72, 0xbe11bafb, v8, -v50
	v_dual_fmac_f32 v50, 0xbe11bafb, v8 :: v_dual_mul_f32 v83, v79, v13
	v_sub_f32_e32 v26, v105, v39
	v_fmac_f32_e32 v25, v81, v20
	v_fma_f32 v20, v62, v22, -v123
	v_mul_f32_e32 v62, 0x3f7d64f0, v38
	v_fma_f32 v73, 0xbf27a4f4, v8, -v51
	v_mul_f32_e32 v58, 0x3e903f40, v26
	v_mul_f32_e32 v49, 0xbf68dda4, v10
	v_mul_f32_e32 v10, 0xbe903f40, v10
	v_fmac_f32_e32 v33, v66, v34
	v_dual_add_f32 v34, v4, v6 :: v_dual_fmac_f32 v51, 0xbf27a4f4, v8
	v_fma_f32 v13, v57, v16, -v124
	v_fmac_f32_e32 v17, v77, v16
	v_fma_f32 v16, v59, v12, -v83
	v_fmac_f32_e32 v23, v79, v12
	v_fma_f32 v12, v60, v14, -v84
	v_mul_f32_e32 v67, 0x3f0a6770, v46
	v_fma_f32 v71, 0x3ed4b147, v8, -v49
	v_add_f32_e32 v45, v0, v2
	v_fmac_f32_e32 v49, 0x3ed4b147, v8
	v_mul_f32_e32 v66, 0xbe903f40, v46
	v_fma_f32 v83, 0xbe11bafb, v34, -v62
	v_mul_f32_e32 v69, 0x3f68dda4, v46
	v_dual_mul_f32 v46, 0xbf7d64f0, v46 :: v_dual_add_f32 v51, v103, v51
	v_dual_fmac_f32 v27, v80, v14 :: v_dual_add_f32 v14, v63, v11
	v_mul_f32_e32 v53, 0xbf4178ce, v18
	v_mul_f32_e32 v56, 0x3f7d64f0, v18
	;; [unrolled: 1-line block ×4, first 2 shown]
	v_fma_f32 v70, 0x3f575c64, v8, -v48
	v_fmac_f32_e32 v48, 0x3f575c64, v8
	v_fma_f32 v74, 0xbf75a155, v8, -v10
	v_fmac_f32_e32 v10, 0xbf75a155, v8
	v_fma_f32 v8, 0x3ed4b147, v14, -v52
	v_dual_fmac_f32 v52, 0x3ed4b147, v14 :: v_dual_add_f32 v49, v103, v49
	v_dual_fmac_f32 v21, v82, v22 :: v_dual_add_f32 v22, v55, v9
	v_mul_f32_e32 v60, 0xbf0a6770, v26
	v_fma_f32 v75, 0xbf27a4f4, v14, -v53
	v_fma_f32 v76, 0xbf75a155, v14, -v54
	v_add_f32_e32 v47, v103, v110
	v_fmac_f32_e32 v54, 0xbf75a155, v14
	v_fma_f32 v77, 0xbe11bafb, v14, -v56
	v_fma_f32 v78, 0x3f575c64, v14, -v18
	v_fmac_f32_e32 v18, 0x3f575c64, v14
	v_fmac_f32_e32 v62, 0xbe11bafb, v34
	v_dual_fmac_f32 v53, 0xbf27a4f4, v14 :: v_dual_add_f32 v48, v103, v48
	v_fmac_f32_e32 v56, 0xbe11bafb, v14
	v_fma_f32 v14, 0xbe11bafb, v22, -v57
	v_fmac_f32_e32 v57, 0xbe11bafb, v22
	v_mul_f32_e32 v59, 0x3f68dda4, v26
	v_mul_f32_e32 v26, 0xbf4178ce, v26
	v_dual_mul_f32 v64, 0xbf0a6770, v38 :: v_dual_add_f32 v47, v47, v63
	v_fma_f32 v81, 0x3f575c64, v22, -v60
	v_mul_f32_e32 v65, 0xbe903f40, v38
	v_fma_f32 v80, 0x3ed4b147, v22, -v59
	v_mul_f32_e32 v61, 0xbf4178ce, v38
	v_mul_f32_e32 v38, 0x3f68dda4, v38
	v_fma_f32 v79, 0xbf75a155, v22, -v58
	v_dual_fmac_f32 v58, 0xbf75a155, v22 :: v_dual_add_f32 v49, v53, v49
	v_fmac_f32_e32 v59, 0x3ed4b147, v22
	v_fmac_f32_e32 v60, 0x3f575c64, v22
	v_fma_f32 v82, 0xbf27a4f4, v22, -v26
	v_fmac_f32_e32 v26, 0xbf27a4f4, v22
	v_fma_f32 v22, 0xbf27a4f4, v34, -v61
	;; [unrolled: 2-line block ×4, first 2 shown]
	v_fma_f32 v112, 0x3ed4b147, v34, -v38
	v_fmac_f32_e32 v38, 0x3ed4b147, v34
	v_fma_f32 v113, 0x3f575c64, v45, -v67
	v_fmac_f32_e32 v67, 0x3f575c64, v45
	;; [unrolled: 2-line block ×4, first 2 shown]
	v_fmac_f32_e32 v68, 0xbf27a4f4, v45
	v_fma_f32 v115, 0x3ed4b147, v45, -v69
	v_fmac_f32_e32 v69, 0x3ed4b147, v45
	v_fma_f32 v116, 0xbe11bafb, v45, -v46
	v_dual_fmac_f32 v46, 0xbe11bafb, v45 :: v_dual_add_f32 v45, v47, v55
	s_delay_alu instid0(VALU_DEP_1) | instskip(NEXT) | instid1(VALU_DEP_1)
	v_dual_add_f32 v50, v103, v50 :: v_dual_add_f32 v45, v45, v4
	v_dual_add_f32 v45, v45, v0 :: v_dual_add_f32 v10, v103, v10
	s_delay_alu instid0(VALU_DEP_1) | instskip(NEXT) | instid1(VALU_DEP_2)
	v_add_f32_e32 v10, v18, v10
	v_add_f32_e32 v18, v45, v2
	s_delay_alu instid0(VALU_DEP_2) | instskip(NEXT) | instid1(VALU_DEP_2)
	v_add_f32_e32 v10, v26, v10
	v_add_f32_e32 v18, v18, v6
	s_delay_alu instid0(VALU_DEP_2) | instskip(NEXT) | instid1(VALU_DEP_2)
	v_add_f32_e32 v10, v38, v10
	v_dual_add_f32 v18, v18, v9 :: v_dual_add_f32 v47, v103, v70
	v_add_f32_e32 v70, v103, v71
	v_add_f32_e32 v71, v103, v72
	;; [unrolled: 1-line block ×3, first 2 shown]
	s_delay_alu instid0(VALU_DEP_4) | instskip(SKIP_3) | instid1(VALU_DEP_4)
	v_add_f32_e32 v18, v18, v11
	v_add_f32_e32 v8, v8, v47
	;; [unrolled: 1-line block ×4, first 2 shown]
	v_dual_add_f32 v51, v56, v51 :: v_dual_add_f32 v18, v18, v36
	s_delay_alu instid0(VALU_DEP_4) | instskip(NEXT) | instid1(VALU_DEP_4)
	v_add_f32_e32 v8, v14, v8
	v_dual_add_f32 v14, v57, v47 :: v_dual_add_f32 v47, v58, v49
	v_dual_add_f32 v50, v54, v50 :: v_dual_add_f32 v53, v77, v72
	s_delay_alu instid0(VALU_DEP_3) | instskip(SKIP_1) | instid1(VALU_DEP_3)
	v_add_f32_e32 v8, v22, v8
	v_add_f32_e32 v10, v46, v10
	v_dual_add_f32 v26, v62, v47 :: v_dual_add_f32 v49, v59, v50
	v_add_f32_e32 v48, v75, v70
	v_dual_add_f32 v50, v81, v53 :: v_dual_add_f32 v51, v60, v51
	s_delay_alu instid0(VALU_DEP_3) | instskip(SKIP_1) | instid1(VALU_DEP_4)
	v_dual_add_f32 v8, v34, v8 :: v_dual_add_f32 v47, v64, v49
	v_add_f32_e32 v73, v103, v74
	v_add_f32_e32 v45, v79, v48
	;; [unrolled: 1-line block ×6, first 2 shown]
	s_delay_alu instid0(VALU_DEP_4) | instskip(SKIP_3) | instid1(VALU_DEP_4)
	v_dual_add_f32 v22, v83, v45 :: v_dual_add_f32 v45, v84, v48
	v_add_f32_e32 v48, v111, v50
	v_add_f32_e32 v26, v67, v26
	;; [unrolled: 1-line block ×5, first 2 shown]
	v_dual_add_f32 v52, v82, v54 :: v_dual_add_f32 v49, v65, v51
	v_add_f32_e32 v38, v115, v48
	s_delay_alu instid0(VALU_DEP_2) | instskip(NEXT) | instid1(VALU_DEP_1)
	v_dual_add_f32 v50, v112, v52 :: v_dual_add_f32 v45, v69, v49
	v_add_f32_e32 v48, v116, v50
	ds_store_2addr_b32 v104, v22, v34 offset0:4 offset1:6
	ds_store_2addr_b32 v104, v38, v48 offset0:8 offset1:10
	ds_store_2addr_b32 v104, v10, v45 offset0:12 offset1:14
	ds_store_2addr_b32 v104, v46, v26 offset0:16 offset1:18
	ds_store_2addr_b32 v104, v18, v8 offset1:2
	ds_store_b32 v104, v14 offset:80
	s_and_saveexec_b32 s1, s0
	s_cbranch_execz .LBB0_18
; %bb.17:
	v_dual_add_f32 v10, v35, v32 :: v_dual_sub_f32 v45, v21, v23
	v_sub_f32_e32 v8, v37, v29
	v_dual_add_f32 v14, v28, v30 :: v_dual_sub_f32 v49, v17, v19
	v_sub_f32_e32 v18, v33, v31
	s_delay_alu instid0(VALU_DEP_4) | instskip(NEXT) | instid1(VALU_DEP_4)
	v_mul_f32_e32 v52, 0x3f68dda4, v45
	v_mul_f32_e32 v26, 0xbe903f40, v8
	s_delay_alu instid0(VALU_DEP_4) | instskip(NEXT) | instid1(VALU_DEP_4)
	v_dual_add_f32 v22, v24, v12 :: v_dual_mul_f32 v53, 0xbf7d64f0, v49
	v_mul_f32_e32 v46, 0x3f0a6770, v18
	s_delay_alu instid0(VALU_DEP_3) | instskip(SKIP_1) | instid1(VALU_DEP_3)
	v_dual_add_f32 v48, v13, v15 :: v_dual_fmamk_f32 v47, v10, 0xbf75a155, v26
	v_dual_sub_f32 v34, v25, v27 :: v_dual_mul_f32 v57, 0x3f68dda4, v49
	v_fmamk_f32 v51, v14, 0x3f575c64, v46
	s_delay_alu instid0(VALU_DEP_3) | instskip(SKIP_2) | instid1(VALU_DEP_3)
	v_add_f32_e32 v47, v44, v47
	v_add_f32_e32 v38, v20, v16
	v_fma_f32 v26, 0xbf75a155, v10, -v26
	v_add_f32_e32 v47, v51, v47
	v_mul_f32_e32 v51, 0xbf4178ce, v8
	s_delay_alu instid0(VALU_DEP_4) | instskip(SKIP_4) | instid1(VALU_DEP_4)
	v_fmamk_f32 v56, v38, 0x3ed4b147, v52
	v_mul_f32_e32 v50, 0xbf4178ce, v34
	v_add_f32_e32 v26, v44, v26
	v_mul_f32_e32 v59, 0x3f68dda4, v34
	v_mul_f32_e32 v60, 0x3e903f40, v34
	v_fmamk_f32 v54, v22, 0xbf27a4f4, v50
	s_delay_alu instid0(VALU_DEP_1) | instskip(SKIP_2) | instid1(VALU_DEP_3)
	v_add_f32_e32 v47, v54, v47
	v_fma_f32 v46, 0x3f575c64, v14, -v46
	v_fmamk_f32 v54, v48, 0xbe11bafb, v53
	v_add_f32_e32 v47, v56, v47
	v_fma_f32 v50, 0xbf27a4f4, v22, -v50
	s_delay_alu instid0(VALU_DEP_4) | instskip(SKIP_1) | instid1(VALU_DEP_4)
	v_add_f32_e32 v26, v46, v26
	v_fmamk_f32 v46, v10, 0xbf27a4f4, v51
	v_dual_mul_f32 v56, 0x3f7d64f0, v18 :: v_dual_add_f32 v47, v54, v47
	v_fma_f32 v52, 0x3ed4b147, v38, -v52
	s_delay_alu instid0(VALU_DEP_4)
	v_add_f32_e32 v26, v50, v26
	v_fma_f32 v51, 0xbf27a4f4, v10, -v51
	v_mul_f32_e32 v54, 0xbf0a6770, v34
	v_fmamk_f32 v50, v14, 0xbe11bafb, v56
	v_mul_f32_e32 v34, 0xbf7d64f0, v34
	v_add_f32_e32 v26, v52, v26
	v_fma_f32 v52, 0xbe11bafb, v48, -v53
	v_add_f32_e32 v51, v44, v51
	v_mul_f32_e32 v53, 0xbe903f40, v45
	v_fmamk_f32 v58, v48, 0x3ed4b147, v57
	v_fma_f32 v57, 0x3ed4b147, v48, -v57
	v_add_f32_e32 v26, v52, v26
	v_fma_f32 v52, 0xbe11bafb, v14, -v56
	s_delay_alu instid0(VALU_DEP_1) | instskip(SKIP_1) | instid1(VALU_DEP_1)
	v_dual_mul_f32 v56, 0xbf7d64f0, v8 :: v_dual_add_f32 v51, v52, v51
	v_fma_f32 v52, 0x3f575c64, v22, -v54
	v_add_f32_e32 v51, v52, v51
	v_fma_f32 v52, 0xbf75a155, v38, -v53
	s_delay_alu instid0(VALU_DEP_1) | instskip(SKIP_2) | instid1(VALU_DEP_2)
	v_add_f32_e32 v51, v52, v51
	v_add_f32_e32 v46, v44, v46
	v_fma_f32 v52, 0xbe11bafb, v10, -v56
	v_dual_add_f32 v51, v57, v51 :: v_dual_add_f32 v46, v50, v46
	v_fmamk_f32 v50, v22, 0x3f575c64, v54
	v_mul_f32_e32 v54, 0x3e903f40, v18
	s_delay_alu instid0(VALU_DEP_4) | instskip(SKIP_1) | instid1(VALU_DEP_4)
	v_dual_add_f32 v52, v44, v52 :: v_dual_mul_f32 v57, 0xbf4178ce, v18
	v_mul_f32_e32 v18, 0xbf68dda4, v18
	v_add_f32_e32 v46, v50, v46
	v_fmamk_f32 v50, v38, 0xbf75a155, v53
	v_fmamk_f32 v53, v14, 0xbf75a155, v54
	v_fma_f32 v54, 0xbf75a155, v14, -v54
	s_delay_alu instid0(VALU_DEP_3) | instskip(SKIP_2) | instid1(VALU_DEP_4)
	v_add_f32_e32 v46, v50, v46
	v_fmamk_f32 v50, v10, 0xbe11bafb, v56
	v_mul_f32_e32 v56, 0xbf0a6770, v45
	v_add_f32_e32 v52, v54, v52
	v_fma_f32 v54, 0x3ed4b147, v22, -v59
	s_delay_alu instid0(VALU_DEP_4) | instskip(NEXT) | instid1(VALU_DEP_2)
	v_add_f32_e32 v50, v44, v50
	v_add_f32_e32 v52, v54, v52
	v_fma_f32 v54, 0x3f575c64, v38, -v56
	s_delay_alu instid0(VALU_DEP_3) | instskip(NEXT) | instid1(VALU_DEP_2)
	v_dual_add_f32 v50, v53, v50 :: v_dual_fmamk_f32 v53, v22, 0x3ed4b147, v59
	v_dual_mul_f32 v59, 0xbf4178ce, v49 :: v_dual_add_f32 v52, v54, v52
	s_delay_alu instid0(VALU_DEP_1) | instskip(SKIP_4) | instid1(VALU_DEP_4)
	v_dual_add_f32 v50, v53, v50 :: v_dual_fmamk_f32 v61, v48, 0xbf27a4f4, v59
	v_fma_f32 v59, 0xbf27a4f4, v48, -v59
	v_fmamk_f32 v53, v38, 0x3f575c64, v56
	v_fmamk_f32 v56, v14, 0xbf27a4f4, v57
	v_fma_f32 v57, 0xbf27a4f4, v14, -v57
	v_dual_add_f32 v52, v59, v52 :: v_dual_add_f32 v59, v44, v35
	s_delay_alu instid0(VALU_DEP_1) | instskip(NEXT) | instid1(VALU_DEP_1)
	v_dual_add_f32 v50, v53, v50 :: v_dual_add_f32 v59, v59, v28
	v_dual_add_f32 v59, v59, v24 :: v_dual_add_f32 v46, v58, v46
	v_mul_f32_e32 v58, 0xbf68dda4, v8
	v_mul_f32_e32 v8, 0xbf0a6770, v8
	s_delay_alu instid0(VALU_DEP_2) | instskip(SKIP_3) | instid1(VALU_DEP_4)
	v_fmamk_f32 v53, v10, 0x3ed4b147, v58
	v_fma_f32 v54, 0x3ed4b147, v10, -v58
	v_mul_f32_e32 v58, 0x3f7d64f0, v45
	v_mul_f32_e32 v45, 0xbf4178ce, v45
	v_add_f32_e32 v53, v44, v53
	s_delay_alu instid0(VALU_DEP_4) | instskip(NEXT) | instid1(VALU_DEP_2)
	v_add_f32_e32 v54, v44, v54
	v_dual_add_f32 v53, v56, v53 :: v_dual_fmamk_f32 v56, v22, 0xbf75a155, v60
	s_delay_alu instid0(VALU_DEP_2) | instskip(SKIP_4) | instid1(VALU_DEP_4)
	v_add_f32_e32 v54, v57, v54
	v_fma_f32 v57, 0xbf75a155, v22, -v60
	v_fmamk_f32 v60, v10, 0x3f575c64, v8
	v_fma_f32 v8, 0x3f575c64, v10, -v8
	v_dual_add_f32 v10, v59, v20 :: v_dual_fmamk_f32 v59, v14, 0x3ed4b147, v18
	v_add_f32_e32 v54, v57, v54
	v_fma_f32 v57, 0xbe11bafb, v38, -v58
	s_delay_alu instid0(VALU_DEP_4) | instskip(NEXT) | instid1(VALU_DEP_4)
	v_add_f32_e32 v8, v44, v8
	v_add_f32_e32 v10, v10, v13
	v_fma_f32 v14, 0x3ed4b147, v14, -v18
	s_delay_alu instid0(VALU_DEP_4) | instskip(NEXT) | instid1(VALU_DEP_3)
	v_dual_add_f32 v53, v56, v53 :: v_dual_add_f32 v54, v57, v54
	v_dual_add_f32 v57, v44, v60 :: v_dual_add_f32 v10, v10, v15
	v_fmamk_f32 v44, v22, 0xbe11bafb, v34
	s_delay_alu instid0(VALU_DEP_4)
	v_add_f32_e32 v8, v14, v8
	v_fma_f32 v14, 0xbe11bafb, v22, -v34
	v_mul_lo_u32 v22, v102, 22
	v_add_f32_e32 v18, v59, v57
	v_add_f32_e32 v10, v10, v16
	v_fmamk_f32 v56, v38, 0xbe11bafb, v58
	v_add_f32_e32 v8, v14, v8
	v_fma_f32 v14, 0xbf27a4f4, v38, -v45
	v_add_f32_e32 v18, v44, v18
	v_mul_f32_e32 v44, 0xbe903f40, v49
	v_add_f32_e32 v10, v10, v12
	v_or_b32_e32 v22, v22, v42
	v_add_f32_e32 v53, v56, v53
	v_mul_f32_e32 v56, 0x3f0a6770, v49
	v_fmamk_f32 v38, v38, 0xbf27a4f4, v45
	v_add_f32_e32 v8, v14, v8
	v_fma_f32 v14, 0xbf75a155, v48, -v44
	v_add_f32_e32 v10, v10, v30
	v_lshlrev_b32_e32 v22, 2, v22
	v_fma_f32 v34, 0x3f575c64, v48, -v56
	v_fmamk_f32 v58, v48, 0x3f575c64, v56
	v_add_f32_e32 v18, v38, v18
	v_fmamk_f32 v38, v48, 0xbf75a155, v44
	v_add_f32_e32 v8, v14, v8
	v_add_f32_e32 v10, v10, v32
	v_add3_u32 v14, 0, v22, v96
	v_add_f32_e32 v22, v34, v54
	v_add_f32_e32 v34, v61, v50
	;; [unrolled: 1-line block ×4, first 2 shown]
	ds_store_2addr_b32 v14, v10, v8 offset1:2
	ds_store_2addr_b32 v14, v22, v52 offset0:4 offset1:6
	ds_store_2addr_b32 v14, v51, v26 offset0:8 offset1:10
	;; [unrolled: 1-line block ×4, first 2 shown]
	ds_store_b32 v14, v18 offset:80
.LBB0_18:
	s_wait_alu 0xfffe
	s_or_b32 exec_lo, exec_lo, s1
	v_dual_add_f32 v8, v101, v109 :: v_dual_sub_f32 v11, v63, v11
	v_sub_f32_e32 v10, v110, v36
	v_sub_f32_e32 v4, v4, v6
	v_dual_sub_f32 v0, v0, v2 :: v_dual_sub_f32 v9, v55, v9
	s_delay_alu instid0(VALU_DEP_4) | instskip(NEXT) | instid1(VALU_DEP_4)
	v_mul_f32_e32 v45, 0x3e903f40, v11
	v_mul_f32_e32 v26, 0xbf68dda4, v10
	v_add_f32_e32 v18, v108, v107
	v_mul_f32_e32 v44, 0xbf4178ce, v11
	v_add_f32_e32 v14, v109, v106
	v_mul_f32_e32 v36, 0xbf4178ce, v10
	v_mul_f32_e32 v34, 0xbf7d64f0, v10
	;; [unrolled: 1-line block ×3, first 2 shown]
	v_dual_fmamk_f32 v51, v18, 0xbf27a4f4, v44 :: v_dual_add_f32 v8, v8, v108
	s_delay_alu instid0(VALU_DEP_4) | instskip(NEXT) | instid1(VALU_DEP_4)
	v_fmamk_f32 v49, v14, 0xbf27a4f4, v36
	v_fmamk_f32 v48, v14, 0xbe11bafb, v34
	v_fma_f32 v34, 0xbe11bafb, v14, -v34
	v_mul_f32_e32 v6, 0xbf4178ce, v9
	v_add_f32_e32 v8, v8, v105
	v_add_f32_e32 v49, v101, v49
	v_fmamk_f32 v47, v14, 0x3ed4b147, v26
	v_mul_f32_e32 v22, 0xbf0a6770, v10
	v_mul_f32_e32 v10, 0xbe903f40, v10
	v_add_f32_e32 v8, v8, v5
	v_fma_f32 v26, 0x3ed4b147, v14, -v26
	s_delay_alu instid0(VALU_DEP_4) | instskip(NEXT) | instid1(VALU_DEP_3)
	v_dual_add_f32 v47, v101, v47 :: v_dual_fmamk_f32 v46, v14, 0x3f575c64, v22
	v_dual_add_f32 v5, v5, v7 :: v_dual_add_f32 v8, v8, v1
	v_fma_f32 v22, 0x3f575c64, v14, -v22
	v_fmamk_f32 v50, v14, 0xbf75a155, v10
	v_fma_f32 v10, 0xbf75a155, v14, -v10
	v_add_f32_e32 v46, v101, v46
	v_add_f32_e32 v8, v8, v3
	;; [unrolled: 1-line block ×6, first 2 shown]
	v_dual_add_f32 v8, v8, v7 :: v_dual_mul_f32 v7, 0xbf4178ce, v4
	v_dual_add_f32 v50, v101, v50 :: v_dual_mul_f32 v59, 0x3f68dda4, v0
	v_mul_f32_e32 v60, 0xbf7d64f0, v0
	s_delay_alu instid0(VALU_DEP_3)
	v_add_f32_e32 v8, v8, v39
	v_add_f32_e32 v39, v105, v39
	v_fma_f32 v36, 0xbf27a4f4, v14, -v36
	v_fmamk_f32 v14, v18, 0x3ed4b147, v38
	v_fma_f32 v38, 0x3ed4b147, v18, -v38
	v_add_f32_e32 v8, v8, v107
	global_wb scope:SCOPE_SE
	s_wait_dscnt 0x0
	v_add_f32_e32 v36, v101, v36
	v_add_f32_e32 v14, v14, v46
	;; [unrolled: 1-line block ×4, first 2 shown]
	v_fma_f32 v8, 0xbf27a4f4, v18, -v44
	v_fmamk_f32 v38, v18, 0xbf75a155, v45
	v_fma_f32 v45, 0xbf75a155, v18, -v45
	v_add_f32_e32 v44, v51, v47
	s_barrier_signal -1
	v_add_f32_e32 v8, v8, v26
	v_mul_f32_e32 v26, 0x3f7d64f0, v11
	v_dual_mul_f32 v11, 0x3f0a6770, v11 :: v_dual_add_f32 v38, v38, v48
	v_add_f32_e32 v34, v45, v34
	v_mul_f32_e32 v48, 0xbf7d64f0, v9
	s_delay_alu instid0(VALU_DEP_4) | instskip(SKIP_4) | instid1(VALU_DEP_3)
	v_fmamk_f32 v45, v18, 0xbe11bafb, v26
	v_fma_f32 v26, 0xbe11bafb, v18, -v26
	v_fmamk_f32 v47, v18, 0x3f575c64, v11
	v_fma_f32 v11, 0x3f575c64, v18, -v11
	s_barrier_wait -1
	v_dual_add_f32 v45, v45, v49 :: v_dual_add_f32 v18, v26, v36
	s_delay_alu instid0(VALU_DEP_3) | instskip(SKIP_3) | instid1(VALU_DEP_3)
	v_add_f32_e32 v26, v47, v50
	v_fmamk_f32 v36, v39, 0xbe11bafb, v48
	v_dual_mul_f32 v47, 0x3e903f40, v9 :: v_dual_add_f32 v50, v1, v3
	v_dual_add_f32 v10, v101, v10 :: v_dual_mul_f32 v1, 0xbe903f40, v0
	v_add_f32_e32 v14, v36, v14
	s_delay_alu instid0(VALU_DEP_3) | instskip(NEXT) | instid1(VALU_DEP_3)
	v_fmamk_f32 v36, v39, 0xbf75a155, v47
	v_dual_fmamk_f32 v61, v50, 0x3ed4b147, v59 :: v_dual_add_f32 v10, v11, v10
	v_fma_f32 v11, 0xbe11bafb, v39, -v48
	v_mul_f32_e32 v48, 0x3f68dda4, v9
	s_delay_alu instid0(VALU_DEP_4)
	v_add_f32_e32 v36, v36, v44
	v_mul_f32_e32 v44, 0xbf0a6770, v9
	v_fma_f32 v47, 0xbf75a155, v39, -v47
	v_add_f32_e32 v11, v11, v22
	v_fmamk_f32 v22, v39, 0x3ed4b147, v48
	v_fma_f32 v48, 0x3ed4b147, v39, -v48
	v_fmamk_f32 v9, v39, 0x3f575c64, v44
	v_fmamk_f32 v62, v50, 0xbe11bafb, v60
	s_delay_alu instid0(VALU_DEP_4) | instskip(SKIP_4) | instid1(VALU_DEP_4)
	v_dual_mul_f32 v3, 0xbf4178ce, v0 :: v_dual_add_f32 v22, v22, v38
	v_fma_f32 v38, 0x3f575c64, v39, -v44
	v_fmamk_f32 v44, v39, 0xbf27a4f4, v6
	v_fma_f32 v6, 0xbf27a4f4, v39, -v6
	v_dual_mul_f32 v39, 0x3f7d64f0, v4 :: v_dual_add_f32 v34, v48, v34
	v_add_f32_e32 v18, v38, v18
	v_fmamk_f32 v38, v5, 0xbf27a4f4, v7
	v_fma_f32 v7, 0xbf27a4f4, v5, -v7
	v_add_f32_e32 v6, v6, v10
	v_dual_add_f32 v26, v44, v26 :: v_dual_add_f32 v9, v9, v45
	s_delay_alu instid0(VALU_DEP_4) | instskip(NEXT) | instid1(VALU_DEP_4)
	v_add_f32_e32 v10, v38, v14
	v_dual_mul_f32 v14, 0xbf0a6770, v4 :: v_dual_add_f32 v7, v7, v11
	v_mul_f32_e32 v11, 0xbe903f40, v4
	v_mul_f32_e32 v4, 0x3f68dda4, v4
	v_fmamk_f32 v38, v5, 0xbe11bafb, v39
	v_fma_f32 v39, 0xbe11bafb, v5, -v39
	v_fmamk_f32 v44, v5, 0x3f575c64, v14
	v_fma_f32 v14, 0x3f575c64, v5, -v14
	;; [unrolled: 2-line block ×3, first 2 shown]
	v_add_f32_e32 v36, v38, v36
	v_fmamk_f32 v38, v5, 0xbf75a155, v11
	v_fma_f32 v11, 0xbf75a155, v5, -v11
	v_dual_add_f32 v51, v2, v26 :: v_dual_mul_f32 v2, 0x3f0a6770, v0
	v_add_f32_e32 v52, v4, v6
	v_fmamk_f32 v4, v50, 0xbf75a155, v1
	v_fma_f32 v1, 0xbf75a155, v50, -v1
	s_delay_alu instid0(VALU_DEP_4)
	v_dual_add_f32 v51, v62, v51 :: v_dual_add_f32 v8, v47, v8
	v_fmamk_f32 v5, v50, 0x3f575c64, v2
	v_fma_f32 v2, 0x3f575c64, v50, -v2
	v_add_f32_e32 v22, v44, v22
	v_fmamk_f32 v6, v50, 0xbf27a4f4, v3
	v_add_f32_e32 v8, v39, v8
	v_dual_add_f32 v54, v1, v7 :: v_dual_lshlrev_b32 v1, 2, v98
	v_add_f32_e32 v47, v14, v34
	s_delay_alu instid0(VALU_DEP_4) | instskip(NEXT) | instid1(VALU_DEP_4)
	v_add_f32_e32 v57, v6, v22
	v_add_f32_e32 v56, v2, v8
	v_lshlrev_b32_e32 v2, 2, v97
	v_lshlrev_b32_e32 v0, 2, v99
	v_add_nc_u32_e32 v14, 0x800, v95
	v_dual_add_f32 v49, v11, v18 :: v_dual_add_nc_u32 v22, 0xc00, v95
	v_add_nc_u32_e32 v18, 0xa00, v95
	v_add3_u32 v8, 0, v1, v96
	v_add_f32_e32 v48, v38, v9
	v_add3_u32 v9, 0, v2, v96
	v_add3_u32 v11, 0, v100, v96
	v_dual_add_f32 v53, v4, v10 :: v_dual_add_nc_u32 v26, 0x300, v95
	v_add_f32_e32 v55, v5, v36
	v_fma_f32 v58, 0xbf27a4f4, v50, -v3
	global_inv scope:SCOPE_SE
	ds_load_b32 v34, v94
	v_add3_u32 v10, 0, v0, v96
	ds_load_2addr_b32 v[2:3], v14 offset0:27 offset1:104
	ds_load_2addr_b32 v[0:1], v18 offset0:53 offset1:130
	;; [unrolled: 1-line block ×3, first 2 shown]
	ds_load_b32 v44, v8
	ds_load_b32 v39, v9
	;; [unrolled: 1-line block ×3, first 2 shown]
	ds_load_2addr_b32 v[6:7], v26 offset0:39 offset1:193
	ds_load_b32 v45, v10
	ds_load_b32 v38, v95 offset:4004
	v_fma_f32 v59, 0x3ed4b147, v50, -v59
	v_fma_f32 v50, 0xbe11bafb, v50, -v60
	v_dual_add_f32 v48, v61, v48 :: v_dual_add_f32 v47, v58, v47
	global_wb scope:SCOPE_SE
	s_wait_dscnt 0x0
	v_dual_add_f32 v49, v59, v49 :: v_dual_add_f32 v50, v50, v52
	s_barrier_signal -1
	s_barrier_wait -1
	global_inv scope:SCOPE_SE
	ds_store_2addr_b32 v104, v46, v53 offset1:2
	ds_store_2addr_b32 v104, v55, v57 offset0:4 offset1:6
	ds_store_2addr_b32 v104, v48, v51 offset0:8 offset1:10
	;; [unrolled: 1-line block ×4, first 2 shown]
	ds_store_b32 v104, v54 offset:80
	s_and_saveexec_b32 s1, s0
	s_cbranch_execz .LBB0_20
; %bb.19:
	v_add_f32_e32 v46, v43, v37
	v_dual_sub_f32 v32, v35, v32 :: v_dual_add_f32 v35, v37, v29
	v_dual_add_f32 v37, v33, v31 :: v_dual_sub_f32 v28, v28, v30
	s_delay_alu instid0(VALU_DEP_2) | instskip(SKIP_2) | instid1(VALU_DEP_3)
	v_dual_add_f32 v30, v46, v33 :: v_dual_mul_f32 v47, 0xbf7d64f0, v32
	v_mul_f32_e32 v33, 0xbf0a6770, v32
	v_sub_f32_e32 v13, v13, v15
	v_dual_mul_f32 v49, 0xbf68dda4, v28 :: v_dual_add_f32 v30, v30, v25
	v_mul_f32_e32 v51, 0x3e903f40, v28
	v_dual_add_f32 v25, v25, v27 :: v_dual_sub_f32 v12, v24, v12
	s_delay_alu instid0(VALU_DEP_3) | instskip(SKIP_1) | instid1(VALU_DEP_2)
	v_dual_add_f32 v30, v30, v21 :: v_dual_add_f32 v21, v21, v23
	v_sub_f32_e32 v16, v20, v16
	v_dual_add_f32 v30, v30, v17 :: v_dual_add_f32 v17, v17, v19
	s_delay_alu instid0(VALU_DEP_1) | instskip(NEXT) | instid1(VALU_DEP_1)
	v_dual_add_f32 v30, v30, v19 :: v_dual_mul_f32 v19, 0xbe903f40, v13
	v_dual_add_f32 v30, v30, v23 :: v_dual_mul_f32 v23, 0xbf4178ce, v16
	s_delay_alu instid0(VALU_DEP_1) | instskip(NEXT) | instid1(VALU_DEP_1)
	v_add_f32_e32 v30, v30, v27
	v_add_f32_e32 v30, v30, v31
	v_fmamk_f32 v52, v35, 0x3f575c64, v33
	v_fma_f32 v33, 0x3f575c64, v35, -v33
	s_delay_alu instid0(VALU_DEP_3) | instskip(NEXT) | instid1(VALU_DEP_2)
	v_dual_mul_f32 v46, 0xbf68dda4, v32 :: v_dual_add_f32 v29, v30, v29
	v_add_f32_e32 v33, v43, v33
	s_delay_alu instid0(VALU_DEP_2)
	v_fmamk_f32 v53, v35, 0x3ed4b147, v46
	v_mul_f32_e32 v48, 0xbf4178ce, v32
	v_fma_f32 v46, 0x3ed4b147, v35, -v46
	v_fmamk_f32 v54, v35, 0xbe11bafb, v47
	v_fma_f32 v47, 0xbe11bafb, v35, -v47
	v_dual_mul_f32 v32, 0xbe903f40, v32 :: v_dual_add_f32 v53, v43, v53
	v_fmamk_f32 v55, v35, 0xbf27a4f4, v48
	v_mul_f32_e32 v50, 0xbf4178ce, v28
	v_fma_f32 v48, 0xbf27a4f4, v35, -v48
	v_add_f32_e32 v47, v43, v47
	v_fmamk_f32 v56, v35, 0xbf75a155, v32
	v_fma_f32 v32, 0xbf75a155, v35, -v32
	v_fmamk_f32 v35, v37, 0x3ed4b147, v49
	v_fma_f32 v49, 0x3ed4b147, v37, -v49
	v_add_f32_e32 v55, v43, v55
	v_fmamk_f32 v57, v37, 0xbf27a4f4, v50
	v_fma_f32 v30, 0xbf27a4f4, v37, -v50
	v_fma_f32 v50, 0xbf75a155, v37, -v51
	v_dual_add_f32 v46, v43, v46 :: v_dual_add_f32 v33, v49, v33
	v_add_f32_e32 v54, v43, v54
	v_add_f32_e32 v31, v43, v48
	s_delay_alu instid0(VALU_DEP_4) | instskip(NEXT) | instid1(VALU_DEP_4)
	v_add_f32_e32 v47, v50, v47
	v_add_f32_e32 v30, v30, v46
	v_mul_f32_e32 v46, 0x3f7d64f0, v28
	v_dual_add_f32 v52, v43, v52 :: v_dual_add_f32 v49, v57, v53
	s_delay_alu instid0(VALU_DEP_2) | instskip(SKIP_4) | instid1(VALU_DEP_3)
	v_fmamk_f32 v24, v37, 0xbe11bafb, v46
	v_fma_f32 v46, 0xbe11bafb, v37, -v46
	v_mul_f32_e32 v27, 0xbf7d64f0, v12
	v_add_f32_e32 v48, v43, v56
	v_add_f32_e32 v35, v35, v52
	v_dual_add_f32 v31, v46, v31 :: v_dual_fmamk_f32 v46, v25, 0xbe11bafb, v27
	v_fma_f32 v27, 0xbe11bafb, v25, -v27
	v_mul_f32_e32 v28, 0x3f0a6770, v28
	v_dual_add_f32 v32, v43, v32 :: v_dual_fmamk_f32 v43, v37, 0xbf75a155, v51
	s_delay_alu instid0(VALU_DEP_4) | instskip(NEXT) | instid1(VALU_DEP_3)
	v_add_f32_e32 v35, v46, v35
	v_dual_add_f32 v27, v27, v33 :: v_dual_fmamk_f32 v50, v37, 0x3f575c64, v28
	v_fma_f32 v28, 0x3f575c64, v37, -v28
	s_delay_alu instid0(VALU_DEP_4) | instskip(NEXT) | instid1(VALU_DEP_3)
	v_add_f32_e32 v43, v43, v54
	v_add_f32_e32 v37, v50, v48
	s_delay_alu instid0(VALU_DEP_3) | instskip(SKIP_1) | instid1(VALU_DEP_1)
	v_add_f32_e32 v28, v28, v32
	v_mul_f32_e32 v32, 0x3f68dda4, v12
	v_dual_add_f32 v24, v24, v55 :: v_dual_fmamk_f32 v33, v25, 0x3ed4b147, v32
	v_mul_f32_e32 v48, 0x3e903f40, v12
	v_fma_f32 v32, 0x3ed4b147, v25, -v32
	s_delay_alu instid0(VALU_DEP_3) | instskip(NEXT) | instid1(VALU_DEP_3)
	v_add_f32_e32 v33, v33, v43
	v_fmamk_f32 v46, v25, 0xbf75a155, v48
	v_fma_f32 v48, 0xbf75a155, v25, -v48
	s_delay_alu instid0(VALU_DEP_4) | instskip(NEXT) | instid1(VALU_DEP_2)
	v_add_f32_e32 v32, v32, v47
	v_add_f32_e32 v30, v48, v30
	v_mul_f32_e32 v48, 0xbf0a6770, v12
	v_mul_f32_e32 v12, 0xbf4178ce, v12
	s_delay_alu instid0(VALU_DEP_2) | instskip(NEXT) | instid1(VALU_DEP_2)
	v_fmamk_f32 v20, v25, 0x3f575c64, v48
	v_fmamk_f32 v47, v25, 0xbf27a4f4, v12
	v_fma_f32 v12, 0xbf27a4f4, v25, -v12
	v_fma_f32 v43, 0x3f575c64, v25, -v48
	v_fmamk_f32 v25, v21, 0xbf27a4f4, v23
	v_fma_f32 v23, 0xbf27a4f4, v21, -v23
	s_delay_alu instid0(VALU_DEP_4)
	v_add_f32_e32 v12, v12, v28
	v_mul_f32_e32 v28, 0xbf0a6770, v16
	v_add_f32_e32 v20, v20, v24
	v_add_f32_e32 v24, v43, v31
	;; [unrolled: 1-line block ×3, first 2 shown]
	v_mul_f32_e32 v37, 0x3f7d64f0, v16
	v_fmamk_f32 v43, v21, 0x3f575c64, v28
	v_add_f32_e32 v25, v25, v35
	v_add_f32_e32 v23, v23, v27
	v_fma_f32 v28, 0x3f575c64, v21, -v28
	v_fmamk_f32 v35, v21, 0xbe11bafb, v37
	v_add_f32_e32 v33, v43, v33
	v_add_f32_e32 v46, v46, v49
	v_fma_f32 v37, 0xbe11bafb, v21, -v37
	v_mul_f32_e32 v27, 0xbe903f40, v16
	v_add_f32_e32 v28, v28, v32
	v_mul_lo_u32 v32, v102, 22
	v_dual_add_f32 v35, v35, v46 :: v_dual_mul_f32 v16, 0x3f68dda4, v16
	v_add_f32_e32 v30, v37, v30
	v_fmamk_f32 v46, v21, 0xbf75a155, v27
	v_fma_f32 v15, 0xbf75a155, v21, -v27
	s_delay_alu instid0(VALU_DEP_4) | instskip(SKIP_2) | instid1(VALU_DEP_4)
	v_fmamk_f32 v27, v21, 0x3ed4b147, v16
	v_fma_f32 v16, 0x3ed4b147, v21, -v16
	v_mul_f32_e32 v21, 0x3f0a6770, v13
	v_add_f32_e32 v15, v15, v24
	s_delay_alu instid0(VALU_DEP_4) | instskip(NEXT) | instid1(VALU_DEP_4)
	v_add_f32_e32 v24, v27, v31
	v_dual_add_f32 v12, v16, v12 :: v_dual_mul_f32 v31, 0xbf4178ce, v13
	v_fmamk_f32 v16, v17, 0xbf75a155, v19
	v_fma_f32 v19, 0xbf75a155, v17, -v19
	v_fmamk_f32 v27, v17, 0x3f575c64, v21
	v_fma_f32 v21, 0x3f575c64, v17, -v21
	s_delay_alu instid0(VALU_DEP_3) | instskip(SKIP_1) | instid1(VALU_DEP_3)
	v_dual_add_f32 v19, v19, v23 :: v_dual_add_f32 v20, v46, v20
	v_fmamk_f32 v23, v17, 0xbf27a4f4, v31
	v_add_f32_e32 v21, v21, v30
	v_or_b32_e32 v30, v32, v42
	v_fma_f32 v31, 0xbf27a4f4, v17, -v31
	s_delay_alu instid0(VALU_DEP_4) | instskip(SKIP_3) | instid1(VALU_DEP_1)
	v_add_f32_e32 v23, v23, v33
	v_dual_add_f32 v16, v16, v25 :: v_dual_add_f32 v25, v27, v35
	v_mul_f32_e32 v27, 0x3f68dda4, v13
	v_dual_mul_f32 v13, 0xbf7d64f0, v13 :: v_dual_lshlrev_b32 v30, 2, v30
	v_fmamk_f32 v33, v17, 0xbe11bafb, v13
	v_fma_f32 v13, 0xbe11bafb, v17, -v13
	s_delay_alu instid0(VALU_DEP_2) | instskip(SKIP_2) | instid1(VALU_DEP_4)
	v_add_f32_e32 v24, v33, v24
	v_fmamk_f32 v32, v17, 0x3ed4b147, v27
	v_fma_f32 v27, 0x3ed4b147, v17, -v27
	v_add_f32_e32 v12, v13, v12
	v_add_f32_e32 v13, v31, v28
	s_delay_alu instid0(VALU_DEP_3)
	v_add_f32_e32 v15, v27, v15
	v_add_f32_e32 v17, v32, v20
	v_add3_u32 v20, 0, v30, v96
	ds_store_2addr_b32 v20, v29, v16 offset1:2
	ds_store_2addr_b32 v20, v25, v23 offset0:4 offset1:6
	ds_store_2addr_b32 v20, v17, v24 offset0:8 offset1:10
	ds_store_2addr_b32 v20, v12, v15 offset0:12 offset1:14
	ds_store_2addr_b32 v20, v13, v21 offset0:16 offset1:18
	ds_store_b32 v20, v19 offset:80
.LBB0_20:
	s_wait_alu 0xfffe
	s_or_b32 exec_lo, exec_lo, s1
	v_lshrrev_b16 v12, 1, v86
	v_lshrrev_b16 v13, 1, v93
	global_wb scope:SCOPE_SE
	s_wait_dscnt 0x0
	s_barrier_signal -1
	s_barrier_wait -1
	v_and_b32_e32 v12, 0x7f, v12
	global_inv scope:SCOPE_SE
	v_mul_lo_u16 v12, 0xbb, v12
	s_delay_alu instid0(VALU_DEP_1) | instskip(SKIP_1) | instid1(VALU_DEP_2)
	v_lshrrev_b16 v15, 11, v12
	v_and_b32_e32 v12, 0x7f, v13
	v_mul_lo_u16 v13, v15, 22
	s_delay_alu instid0(VALU_DEP_2) | instskip(NEXT) | instid1(VALU_DEP_2)
	v_mul_lo_u16 v12, 0xbb, v12
	v_sub_nc_u16 v13, v86, v13
	s_delay_alu instid0(VALU_DEP_2) | instskip(NEXT) | instid1(VALU_DEP_2)
	v_lshrrev_b16 v16, 11, v12
	v_and_b32_e32 v17, 0xff, v13
	s_delay_alu instid0(VALU_DEP_2) | instskip(NEXT) | instid1(VALU_DEP_2)
	v_mul_lo_u16 v12, v16, 22
	v_mul_u32_u24_e32 v13, 6, v17
	s_delay_alu instid0(VALU_DEP_2) | instskip(NEXT) | instid1(VALU_DEP_2)
	v_sub_nc_u16 v12, v93, v12
	v_lshlrev_b32_e32 v13, 3, v13
	s_clause 0x1
	global_load_b128 v[27:30], v13, s[4:5] offset:160
	global_load_b128 v[46:49], v13, s[4:5] offset:176
	v_and_b32_e32 v21, 0xff, v12
	s_delay_alu instid0(VALU_DEP_1) | instskip(NEXT) | instid1(VALU_DEP_1)
	v_mul_u32_u24_e32 v12, 6, v21
	v_lshlrev_b32_e32 v12, 3, v12
	s_clause 0x3
	global_load_b128 v[50:53], v13, s[4:5] offset:192
	global_load_b128 v[54:57], v12, s[4:5] offset:160
	;; [unrolled: 1-line block ×4, first 2 shown]
	ds_load_b32 v25, v94
	ds_load_2addr_b32 v[12:13], v14 offset0:27 offset1:104
	ds_load_b32 v31, v10
	ds_load_b32 v32, v8
	v_and_b32_e32 v23, 0xffff, v15
	v_and_b32_e32 v24, 0xffff, v16
	ds_load_b32 v33, v9
	ds_load_2addr_b32 v[15:16], v18 offset0:53 offset1:130
	ds_load_2addr_b32 v[19:20], v22 offset0:79 offset1:156
	s_wait_loadcnt_dscnt 0x402
	v_dual_mul_f32 v66, v33, v47 :: v_dual_lshlrev_b32 v17, 2, v17
	v_lshlrev_b32_e32 v21, 2, v21
	v_mul_f32_e32 v67, v13, v49
	v_mad_u32_u24 v37, 0x268, v24, 0
	v_mul_f32_e32 v49, v3, v49
	v_mul_f32_e32 v47, v39, v47
	s_delay_alu instid0(VALU_DEP_4) | instskip(NEXT) | instid1(VALU_DEP_4)
	v_fma_f32 v3, v3, v48, -v67
	v_add3_u32 v21, v37, v21, v96
	v_mul_f32_e32 v37, v32, v30
	v_mul_f32_e32 v30, v44, v30
	s_wait_loadcnt_dscnt 0x301
	v_dual_fmac_f32 v47, v33, v46 :: v_dual_mul_f32 v68, v16, v51
	s_wait_dscnt 0x0
	v_mul_f32_e32 v69, v20, v53
	s_wait_loadcnt 0x1
	v_mul_f32_e32 v72, v12, v59
	s_wait_loadcnt 0x0
	v_mul_f32_e32 v74, v19, v63
	v_fmac_f32_e32 v30, v32, v29
	v_mad_u32_u24 v35, 0x268, v23, 0
	ds_load_b32 v42, v11
	ds_load_2addr_b32 v[23:24], v26 offset0:39 offset1:193
	ds_load_b32 v43, v95 offset:4004
	v_fmac_f32_e32 v49, v13, v48
	global_wb scope:SCOPE_SE
	s_wait_dscnt 0x0
	s_barrier_signal -1
	v_add3_u32 v35, v35, v17, v96
	v_mul_f32_e32 v17, v31, v28
	v_mul_f32_e32 v28, v45, v28
	;; [unrolled: 1-line block ×3, first 2 shown]
	v_fma_f32 v5, v5, v52, -v69
	s_barrier_wait -1
	v_fma_f32 v17, v45, v27, -v17
	s_delay_alu instid0(VALU_DEP_3)
	v_dual_fmac_f32 v28, v31, v27 :: v_dual_fmac_f32 v53, v20, v52
	v_mul_f32_e32 v51, v1, v51
	v_fma_f32 v27, v44, v29, -v37
	v_fma_f32 v29, v39, v46, -v66
	v_fma_f32 v1, v1, v50, -v68
	global_inv scope:SCOPE_SE
	v_mul_f32_e32 v70, v23, v55
	v_mul_f32_e32 v75, v43, v65
	;; [unrolled: 1-line block ×4, first 2 shown]
	s_delay_alu instid0(VALU_DEP_4) | instskip(NEXT) | instid1(VALU_DEP_3)
	v_fma_f32 v6, v6, v54, -v70
	v_fmac_f32_e32 v65, v43, v64
	v_mul_f32_e32 v59, v2, v59
	v_fma_f32 v2, v2, v58, -v72
	s_delay_alu instid0(VALU_DEP_2) | instskip(SKIP_4) | instid1(VALU_DEP_4)
	v_fmac_f32_e32 v59, v12, v58
	v_fmac_f32_e32 v51, v16, v50
	v_mul_f32_e32 v71, v24, v57
	v_fma_f32 v12, v38, v64, -v75
	v_mul_f32_e32 v57, v7, v57
	v_dual_mul_f32 v73, v15, v61 :: v_dual_sub_f32 v20, v30, v51
	s_delay_alu instid0(VALU_DEP_4) | instskip(SKIP_3) | instid1(VALU_DEP_3)
	v_fma_f32 v7, v7, v56, -v71
	v_mul_f32_e32 v63, v4, v63
	v_fma_f32 v4, v4, v62, -v74
	v_mul_f32_e32 v61, v0, v61
	v_dual_sub_f32 v16, v28, v53 :: v_dual_fmac_f32 v63, v19, v62
	s_delay_alu instid0(VALU_DEP_3) | instskip(NEXT) | instid1(VALU_DEP_3)
	v_dual_add_f32 v19, v30, v51 :: v_dual_add_f32 v30, v7, v4
	v_fmac_f32_e32 v61, v15, v60
	v_dual_add_f32 v15, v28, v53 :: v_dual_add_f32 v28, v6, v12
	v_sub_f32_e32 v6, v6, v12
	v_fma_f32 v0, v0, v60, -v73
	v_fmac_f32_e32 v57, v24, v56
	v_sub_f32_e32 v4, v7, v4
	v_add_f32_e32 v38, v19, v15
	v_add_f32_e32 v24, v47, v49
	v_fmac_f32_e32 v55, v23, v54
	v_add_f32_e32 v23, v29, v3
	v_dual_sub_f32 v3, v3, v29 :: v_dual_add_f32 v32, v2, v0
	v_dual_add_f32 v13, v17, v5 :: v_dual_sub_f32 v0, v0, v2
	v_sub_f32_e32 v5, v17, v5
	v_add_f32_e32 v17, v27, v1
	v_dual_sub_f32 v1, v27, v1 :: v_dual_add_f32 v48, v30, v28
	s_delay_alu instid0(VALU_DEP_4)
	v_add_f32_e32 v52, v0, v4
	v_sub_f32_e32 v54, v0, v4
	v_sub_f32_e32 v0, v6, v0
	v_dual_sub_f32 v4, v4, v6 :: v_dual_sub_f32 v43, v19, v15
	v_sub_f32_e32 v15, v15, v24
	v_sub_f32_e32 v19, v24, v19
	v_add_f32_e32 v24, v24, v38
	v_dual_add_f32 v44, v3, v1 :: v_dual_sub_f32 v27, v49, v47
	v_sub_f32_e32 v50, v30, v28
	v_dual_sub_f32 v28, v28, v32 :: v_dual_sub_f32 v39, v17, v13
	v_mul_f32_e32 v38, 0x3d64c772, v19
	v_dual_add_f32 v31, v57, v63 :: v_dual_add_f32 v6, v52, v6
	v_dual_mul_f32 v52, 0xbf08b237, v54 :: v_dual_add_f32 v45, v27, v20
	v_sub_f32_e32 v47, v27, v20
	v_sub_f32_e32 v27, v16, v27
	v_dual_sub_f32 v20, v20, v16 :: v_dual_add_f32 v29, v55, v65
	s_delay_alu instid0(VALU_DEP_4) | instskip(SKIP_3) | instid1(VALU_DEP_3)
	v_add_f32_e32 v16, v45, v16
	v_dual_sub_f32 v46, v3, v1 :: v_dual_sub_f32 v3, v5, v3
	v_dual_sub_f32 v1, v1, v5 :: v_dual_sub_f32 v30, v32, v30
	v_add_f32_e32 v37, v17, v13
	v_dual_add_f32 v5, v44, v5 :: v_dual_mul_f32 v44, 0xbf08b237, v46
	v_dual_mul_f32 v45, 0xbf08b237, v47 :: v_dual_add_f32 v32, v32, v48
	v_sub_f32_e32 v13, v13, v23
	v_dual_sub_f32 v7, v57, v63 :: v_dual_mul_f32 v28, 0x3f4a47b2, v28
	v_dual_sub_f32 v2, v61, v59 :: v_dual_sub_f32 v17, v23, v17
	v_mul_f32_e32 v47, 0x3f5ff5aa, v20
	v_fma_f32 v20, 0x3f5ff5aa, v20, -v45
	v_dual_add_f32 v36, v36, v32 :: v_dual_mul_f32 v13, 0x3f4a47b2, v13
	v_sub_f32_e32 v12, v55, v65
	v_mul_f32_e32 v46, 0x3f5ff5aa, v1
	v_dual_mul_f32 v48, 0x3d64c772, v30 :: v_dual_add_f32 v23, v23, v37
	v_fmamk_f32 v30, v30, 0x3d64c772, v28
	v_fmac_f32_e32 v20, 0x3ee1c552, v16
	v_mul_f32_e32 v37, 0x3d64c772, v17
	v_fmamk_f32 v17, v17, 0x3d64c772, v13
	v_add_f32_e32 v53, v2, v7
	v_fma_f32 v13, 0xbf3bfb3b, v39, -v13
	v_sub_f32_e32 v55, v2, v7
	v_dual_add_f32 v33, v59, v61 :: v_dual_sub_f32 v2, v12, v2
	v_sub_f32_e32 v7, v7, v12
	s_delay_alu instid0(VALU_DEP_3)
	v_dual_add_f32 v12, v53, v12 :: v_dual_mul_f32 v53, 0xbf08b237, v55
	v_fma_f32 v37, 0x3f3bfb3b, v39, -v37
	v_fmamk_f32 v39, v3, 0x3eae86e6, v44
	v_fma_f32 v3, 0xbeae86e6, v3, -v46
	v_fmamk_f32 v46, v0, 0x3eae86e6, v52
	v_mul_f32_e32 v54, 0x3f5ff5aa, v4
	v_add_f32_e32 v34, v34, v23
	v_mul_f32_e32 v15, 0x3f4a47b2, v15
	v_fma_f32 v38, 0x3f3bfb3b, v43, -v38
	v_fmac_f32_e32 v46, 0x3ee1c552, v6
	v_fma_f32 v1, 0x3f5ff5aa, v1, -v44
	v_fma_f32 v44, 0x3f3bfb3b, v50, -v48
	;; [unrolled: 1-line block ×3, first 2 shown]
	v_add_f32_e32 v49, v31, v29
	v_fma_f32 v4, 0x3f5ff5aa, v7, -v53
	v_sub_f32_e32 v51, v31, v29
	v_sub_f32_e32 v31, v33, v31
	v_dual_sub_f32 v29, v29, v33 :: v_dual_fmac_f32 v48, 0x3ee1c552, v6
	s_delay_alu instid0(VALU_DEP_4) | instskip(NEXT) | instid1(VALU_DEP_3)
	v_dual_fmac_f32 v4, 0x3ee1c552, v12 :: v_dual_add_f32 v33, v33, v49
	v_mul_f32_e32 v49, 0x3d64c772, v31
	v_add_f32_e32 v25, v25, v24
	v_fma_f32 v28, 0xbf3bfb3b, v50, -v28
	s_delay_alu instid0(VALU_DEP_4)
	v_dual_add_f32 v42, v42, v33 :: v_dual_fmamk_f32 v19, v19, 0x3d64c772, v15
	v_fma_f32 v15, 0xbf3bfb3b, v43, -v15
	v_fmamk_f32 v43, v27, 0x3eae86e6, v45
	v_fma_f32 v45, 0x3f3bfb3b, v51, -v49
	v_fma_f32 v49, 0xbeae86e6, v0, -v54
	;; [unrolled: 1-line block ×3, first 2 shown]
	v_fmamk_f32 v47, v2, 0x3eae86e6, v53
	v_fmac_f32_e32 v43, 0x3ee1c552, v16
	s_delay_alu instid0(VALU_DEP_4)
	v_fmac_f32_e32 v49, 0x3ee1c552, v6
	v_mul_f32_e32 v55, 0x3f5ff5aa, v7
	v_fmamk_f32 v7, v24, 0xbf955555, v25
	v_fmac_f32_e32 v27, 0x3ee1c552, v16
	v_fmamk_f32 v16, v33, 0xbf955555, v42
	v_fmac_f32_e32 v47, 0x3ee1c552, v12
	v_fma_f32 v0, 0xbeae86e6, v2, -v55
	s_delay_alu instid0(VALU_DEP_3) | instskip(SKIP_1) | instid1(VALU_DEP_3)
	v_add_f32_e32 v24, v45, v16
	v_fmamk_f32 v2, v23, 0xbf955555, v34
	v_fmac_f32_e32 v0, 0x3ee1c552, v12
	v_dual_add_f32 v12, v19, v7 :: v_dual_fmac_f32 v39, 0x3ee1c552, v5
	v_fmac_f32_e32 v1, 0x3ee1c552, v5
	v_fmac_f32_e32 v3, 0x3ee1c552, v5
	v_dual_fmamk_f32 v5, v32, 0xbf955555, v36 :: v_dual_add_f32 v6, v17, v2
	v_add_f32_e32 v17, v37, v2
	v_dual_add_f32 v19, v38, v7 :: v_dual_add_f32 v2, v13, v2
	v_add_f32_e32 v7, v15, v7
	s_delay_alu instid0(VALU_DEP_4)
	v_add_f32_e32 v13, v30, v5
	v_add_f32_e32 v15, v44, v5
	;; [unrolled: 1-line block ×3, first 2 shown]
	v_dual_mul_f32 v29, 0x3f4a47b2, v29 :: v_dual_add_f32 v30, v27, v2
	v_sub_f32_e32 v32, v17, v20
	v_add_f32_e32 v33, v1, v19
	v_add_f32_e32 v17, v20, v17
	s_delay_alu instid0(VALU_DEP_4) | instskip(SKIP_3) | instid1(VALU_DEP_4)
	v_fmamk_f32 v31, v31, 0x3d64c772, v29
	v_fma_f32 v29, 0xbf3bfb3b, v51, -v29
	v_sub_f32_e32 v19, v19, v1
	v_sub_f32_e32 v1, v2, v27
	v_dual_sub_f32 v2, v6, v43 :: v_dual_add_f32 v23, v31, v16
	s_delay_alu instid0(VALU_DEP_4)
	v_add_f32_e32 v28, v29, v16
	v_add_f32_e32 v16, v43, v6
	v_sub_f32_e32 v31, v7, v3
	v_add_f32_e32 v20, v3, v7
	v_add_f32_e32 v3, v47, v13
	;; [unrolled: 1-line block ×3, first 2 shown]
	v_sub_f32_e32 v0, v5, v0
	v_dual_sub_f32 v7, v15, v4 :: v_dual_add_f32 v4, v4, v15
	v_sub_f32_e32 v5, v13, v47
	v_sub_f32_e32 v29, v12, v39
	v_add_f32_e32 v27, v39, v12
	ds_store_2addr_b32 v35, v34, v16 offset1:22
	ds_store_2addr_b32 v35, v30, v32 offset0:44 offset1:66
	ds_store_2addr_b32 v35, v17, v1 offset0:88 offset1:110
	ds_store_b32 v35, v2 offset:528
	ds_store_2addr_b32 v21, v36, v3 offset1:22
	ds_store_2addr_b32 v21, v6, v7 offset0:44 offset1:66
	ds_store_2addr_b32 v21, v4, v0 offset0:88 offset1:110
	ds_store_b32 v21, v5 offset:528
	global_wb scope:SCOPE_SE
	s_wait_dscnt 0x0
	s_barrier_signal -1
	s_barrier_wait -1
	global_inv scope:SCOPE_SE
	ds_load_b32 v12, v94
	ds_load_2addr_b32 v[0:1], v14 offset0:27 offset1:104
	ds_load_2addr_b32 v[4:5], v18 offset0:53 offset1:130
	;; [unrolled: 1-line block ×3, first 2 shown]
	ds_load_b32 v14, v8
	ds_load_b32 v17, v9
	ds_load_b32 v13, v11
	ds_load_2addr_b32 v[6:7], v26 offset0:39 offset1:193
	ds_load_b32 v15, v10
	ds_load_b32 v16, v95 offset:4004
	v_dual_sub_f32 v37, v23, v46 :: v_dual_sub_f32 v38, v28, v49
	v_add_f32_e32 v39, v48, v24
	v_sub_f32_e32 v18, v24, v48
	v_dual_add_f32 v22, v49, v28 :: v_dual_add_f32 v23, v46, v23
	global_wb scope:SCOPE_SE
	s_wait_dscnt 0x0
	s_barrier_signal -1
	s_barrier_wait -1
	global_inv scope:SCOPE_SE
	ds_store_2addr_b32 v35, v25, v29 offset1:22
	ds_store_2addr_b32 v35, v31, v33 offset0:44 offset1:66
	ds_store_2addr_b32 v35, v19, v20 offset0:88 offset1:110
	ds_store_b32 v35, v27 offset:528
	ds_store_2addr_b32 v21, v42, v37 offset1:22
	ds_store_2addr_b32 v21, v38, v39 offset0:44 offset1:66
	ds_store_2addr_b32 v21, v18, v22 offset0:88 offset1:110
	ds_store_b32 v21, v23 offset:528
	global_wb scope:SCOPE_SE
	s_wait_dscnt 0x0
	s_barrier_signal -1
	s_barrier_wait -1
	global_inv scope:SCOPE_SE
	s_and_saveexec_b32 s0, vcc_lo
	s_cbranch_execz .LBB0_22
; %bb.21:
	v_mul_u32_u24_e32 v18, 6, v86
	v_mul_i32_i24_e32 v26, 6, v93
	v_mul_hi_u32 v60, 0x3531dec1, v85
	v_add_nc_u32_e32 v56, 0x800, v95
	v_add_nc_u32_e32 v58, 0xc00, v95
	v_dual_mov_b32 v27, 0 :: v_dual_lshlrev_b32 v38, 3, v18
	v_mad_co_u64_u32 v[46:47], null, s8, v92, 0
	v_mad_co_u64_u32 v[48:49], null, s8, v90, 0
	s_delay_alu instid0(VALU_DEP_3)
	v_lshlrev_b64_e32 v[26:27], 3, v[26:27]
	s_clause 0x1
	global_load_b128 v[18:21], v38, s[4:5] offset:1248
	global_load_b128 v[22:25], v38, s[4:5] offset:1232
	v_lshrrev_b32_e32 v66, 5, v60
	v_mad_co_u64_u32 v[50:51], null, s8, v91, 0
	v_add_co_u32 v34, vcc_lo, s4, v26
	s_wait_alu 0xfffd
	v_add_co_ci_u32_e32 v35, vcc_lo, s5, v27, vcc_lo
	v_mad_u32_u24 v75, 0x39c, v66, v85
	s_clause 0x3
	global_load_b128 v[26:29], v[34:35], off offset:1216
	global_load_b128 v[30:33], v[34:35], off offset:1248
	;; [unrolled: 1-line block ×3, first 2 shown]
	global_load_b128 v[42:45], v38, s[4:5] offset:1216
	ds_load_b32 v81, v10
	ds_load_b32 v82, v11
	;; [unrolled: 1-line block ×4, first 2 shown]
	ds_load_b32 v93, v95 offset:4004
	ds_load_b32 v94, v94
	v_mad_co_u64_u32 v[8:9], null, s8, v86, 0
	v_mad_co_u64_u32 v[10:11], null, s8, v87, 0
	;; [unrolled: 1-line block ×3, first 2 shown]
	v_add_nc_u32_e32 v85, 0x302, v75
	s_delay_alu instid0(VALU_DEP_3)
	v_mad_co_u64_u32 v[60:61], null, s9, v86, v[9:10]
	v_add_nc_u32_e32 v52, 0x300, v95
	v_mad_co_u64_u32 v[61:62], null, s9, v87, v[11:12]
	v_add_nc_u32_e32 v54, 0xa00, v95
	v_add_co_u32 v95, vcc_lo, s10, v40
	s_wait_alu 0xfffd
	v_add_co_ci_u32_e32 v96, vcc_lo, s11, v41, vcc_lo
	v_mad_co_u64_u32 v[40:41], null, s8, v89, 0
	v_mov_b32_e32 v11, v61
	v_mov_b32_e32 v9, v60
	s_delay_alu instid0(VALU_DEP_2) | instskip(NEXT) | instid1(VALU_DEP_4)
	v_lshlrev_b64_e32 v[10:11], 3, v[10:11]
	v_mad_co_u64_u32 v[62:63], null, s9, v88, v[39:40]
	s_delay_alu instid0(VALU_DEP_3) | instskip(NEXT) | instid1(VALU_DEP_2)
	v_lshlrev_b64_e32 v[8:9], 3, v[8:9]
	v_mov_b32_e32 v39, v62
	s_delay_alu instid0(VALU_DEP_2) | instskip(SKIP_1) | instid1(VALU_DEP_3)
	v_add_co_u32 v8, vcc_lo, v95, v8
	s_wait_alu 0xfffd
	v_add_co_ci_u32_e32 v9, vcc_lo, v96, v9, vcc_lo
	s_delay_alu instid0(VALU_DEP_3) | instskip(SKIP_3) | instid1(VALU_DEP_3)
	v_lshlrev_b64_e32 v[38:39], 3, v[38:39]
	v_add_co_u32 v10, vcc_lo, v95, v10
	s_wait_alu 0xfffd
	v_add_co_ci_u32_e32 v11, vcc_lo, v96, v11, vcc_lo
	v_add_co_u32 v38, vcc_lo, v95, v38
	s_wait_alu 0xfffd
	v_add_co_ci_u32_e32 v39, vcc_lo, v96, v39, vcc_lo
	s_wait_loadcnt 0x0
	v_mad_co_u64_u32 v[63:64], null, s9, v89, v[41:42]
	v_mad_co_u64_u32 v[64:65], null, s9, v92, v[47:48]
	;; [unrolled: 1-line block ×3, first 2 shown]
	v_add_nc_u32_e32 v80, 0x268, v75
	s_delay_alu instid0(VALU_DEP_4)
	v_dual_mov_b32 v41, v63 :: v_dual_add_nc_u32 v78, 0x134, v75
	ds_load_2addr_b32 v[52:53], v52 offset0:39 offset1:193
	ds_load_2addr_b32 v[54:55], v54 offset0:53 offset1:130
	;; [unrolled: 1-line block ×4, first 2 shown]
	v_mov_b32_e32 v47, v64
	v_mov_b32_e32 v49, v65
	v_mad_co_u64_u32 v[69:70], null, s8, v80, 0
	v_add_nc_u32_e32 v79, 0x1ce, v75
	v_mad_co_u64_u32 v[62:63], null, s8, v78, 0
	v_lshlrev_b64_e32 v[40:41], 3, v[40:41]
	v_lshlrev_b64_e32 v[46:47], 3, v[46:47]
	;; [unrolled: 1-line block ×3, first 2 shown]
	s_delay_alu instid0(VALU_DEP_3)
	v_add_co_u32 v40, vcc_lo, v95, v40
	s_wait_dscnt 0x3
	v_mad_co_u64_u32 v[66:67], null, s9, v91, v[51:52]
	v_mad_co_u64_u32 v[67:68], null, s8, v75, 0
	v_add_nc_u32_e32 v77, 0x9a, v75
	v_add_nc_u32_e32 v86, 0x39c, v75
	s_wait_alu 0xfffd
	v_add_co_ci_u32_e32 v41, vcc_lo, v96, v41, vcc_lo
	v_mov_b32_e32 v51, v66
	v_add_co_u32 v46, vcc_lo, v95, v46
	v_mov_b32_e32 v66, v68
	v_mad_co_u64_u32 v[60:61], null, s8, v77, 0
	s_delay_alu instid0(VALU_DEP_4)
	v_lshlrev_b64_e32 v[50:51], 3, v[50:51]
	s_wait_alu 0xfffd
	v_add_co_ci_u32_e32 v47, vcc_lo, v96, v47, vcc_lo
	v_mad_co_u64_u32 v[75:76], null, s9, v75, v[66:67]
	v_mov_b32_e32 v66, v70
	v_mad_co_u64_u32 v[64:65], null, s8, v79, 0
	v_mad_co_u64_u32 v[76:77], null, s9, v77, v[61:62]
	v_add_co_u32 v48, vcc_lo, v95, v48
	s_wait_dscnt 0x1
	v_dual_mov_b32 v68, v75 :: v_dual_mul_f32 v75, v57, v25
	s_delay_alu instid0(VALU_DEP_4) | instskip(SKIP_2) | instid1(VALU_DEP_4)
	v_mad_co_u64_u32 v[77:78], null, s9, v78, v[63:64]
	v_mad_co_u64_u32 v[78:79], null, s9, v79, v[65:66]
	;; [unrolled: 1-line block ×3, first 2 shown]
	v_lshlrev_b64_e32 v[66:67], 3, v[67:68]
	s_wait_dscnt 0x0
	s_delay_alu instid0(VALU_DEP_4) | instskip(SKIP_3) | instid1(VALU_DEP_4)
	v_dual_mul_f32 v68, v59, v21 :: v_dual_mov_b32 v63, v77
	v_mul_f32_e32 v77, v55, v19
	v_mul_f32_e32 v19, v5, v19
	;; [unrolled: 1-line block ×3, first 2 shown]
	v_fma_f32 v3, v3, v20, -v68
	v_mul_f32_e32 v68, v84, v45
	v_dual_mov_b32 v61, v76 :: v_dual_mov_b32 v70, v79
	v_fmac_f32_e32 v19, v18, v55
	v_mul_f32_e32 v55, v53, v29
	v_mul_f32_e32 v29, v7, v29
	v_dual_mov_b32 v65, v78 :: v_dual_mul_f32 v76, v83, v23
	v_mul_f32_e32 v23, v17, v23
	s_delay_alu instid0(VALU_DEP_4)
	v_fma_f32 v7, v7, v28, -v55
	v_dual_fmac_f32 v21, v20, v59 :: v_dual_mul_f32 v20, v93, v33
	v_fma_f32 v5, v5, v18, -v77
	v_mul_f32_e32 v18, v52, v27
	v_mul_f32_e32 v59, v81, v43
	;; [unrolled: 1-line block ×4, first 2 shown]
	v_fma_f32 v16, v16, v32, -v20
	v_fma_f32 v17, v17, v22, -v76
	v_fmac_f32_e32 v29, v28, v53
	v_fmac_f32_e32 v43, v42, v81
	v_mul_f32_e32 v27, v6, v27
	v_fma_f32 v6, v6, v26, -v18
	v_mul_f32_e32 v25, v1, v25
	v_fma_f32 v1, v1, v24, -v75
	s_wait_alu 0xfffd
	v_add_co_ci_u32_e32 v49, vcc_lo, v96, v49, vcc_lo
	s_delay_alu instid0(VALU_DEP_3) | instskip(SKIP_4) | instid1(VALU_DEP_4)
	v_dual_sub_f32 v18, v6, v16 :: v_dual_fmac_f32 v25, v24, v57
	v_mul_f32_e32 v24, v56, v35
	v_mul_f32_e32 v57, v58, v31
	;; [unrolled: 1-line block ×3, first 2 shown]
	v_dual_mul_f32 v35, v0, v35 :: v_dual_add_f32 v6, v6, v16
	v_fma_f32 v0, v0, v34, -v24
	v_fmac_f32_e32 v23, v22, v83
	v_mul_f32_e32 v22, v54, v37
	v_fmac_f32_e32 v31, v30, v58
	v_mul_f32_e32 v37, v4, v37
	v_fma_f32 v2, v2, v30, -v57
	v_fmac_f32_e32 v35, v34, v56
	v_fma_f32 v4, v4, v36, -v22
	s_delay_alu instid0(VALU_DEP_4) | instskip(NEXT) | instid1(VALU_DEP_4)
	v_dual_sub_f32 v16, v29, v31 :: v_dual_fmac_f32 v37, v36, v54
	v_sub_f32_e32 v22, v7, v2
	v_add_f32_e32 v2, v7, v2
	s_delay_alu instid0(VALU_DEP_4) | instskip(SKIP_4) | instid1(VALU_DEP_4)
	v_sub_f32_e32 v20, v4, v0
	v_add_f32_e32 v0, v4, v0
	v_add_f32_e32 v24, v37, v35
	v_dual_add_f32 v76, v25, v23 :: v_dual_fmac_f32 v33, v32, v93
	v_dual_add_f32 v28, v43, v21 :: v_dual_fmac_f32 v27, v26, v52
	v_dual_sub_f32 v7, v37, v35 :: v_dual_sub_f32 v34, v0, v2
	v_add_f32_e32 v35, v6, v2
	v_sub_f32_e32 v2, v2, v6
	s_delay_alu instid0(VALU_DEP_4)
	v_sub_f32_e32 v4, v27, v33
	v_sub_f32_e32 v75, v1, v17
	v_add_f32_e32 v1, v1, v17
	v_sub_f32_e32 v17, v25, v23
	v_add_f32_e32 v23, v27, v33
	v_sub_f32_e32 v33, v6, v0
	v_sub_f32_e32 v6, v16, v4
	v_mad_co_u64_u32 v[71:72], null, s8, v85, 0
	s_delay_alu instid0(VALU_DEP_4) | instskip(SKIP_4) | instid1(VALU_DEP_4)
	v_sub_f32_e32 v30, v23, v24
	v_fma_f32 v15, v15, v42, -v59
	v_mul_f32_e32 v45, v14, v45
	v_fma_f32 v14, v14, v44, -v68
	v_mad_co_u64_u32 v[73:74], null, s8, v86, 0
	v_sub_f32_e32 v26, v15, v3
	v_add_f32_e32 v3, v15, v3
	v_fmac_f32_e32 v45, v44, v84
	v_sub_f32_e32 v27, v14, v5
	v_add_f32_e32 v5, v14, v5
	v_dual_add_f32 v25, v29, v31 :: v_dual_sub_f32 v14, v43, v21
	s_delay_alu instid0(VALU_DEP_4)
	v_add_f32_e32 v29, v45, v19
	v_sub_f32_e32 v15, v45, v19
	v_sub_f32_e32 v19, v18, v20
	v_sub_f32_e32 v21, v20, v22
	v_add_f32_e32 v20, v20, v22
	v_sub_f32_e32 v22, v22, v18
	v_add_f32_e32 v54, v3, v5
	v_sub_f32_e32 v31, v24, v25
	v_add_co_u32 v50, vcc_lo, v95, v50
	v_add_f32_e32 v18, v18, v20
	s_delay_alu instid0(VALU_DEP_4) | instskip(SKIP_4) | instid1(VALU_DEP_4)
	v_add_f32_e32 v54, v1, v54
	v_add_f32_e32 v32, v23, v25
	v_mul_f32_e32 v20, 0x3f4a47b2, v30
	v_dual_sub_f32 v36, v4, v7 :: v_dual_sub_f32 v37, v7, v16
	v_add_f32_e32 v7, v7, v16
	v_add_f32_e32 v24, v24, v32
	;; [unrolled: 1-line block ×3, first 2 shown]
	v_dual_add_f32 v32, v0, v35 :: v_dual_sub_f32 v53, v1, v5
	v_sub_f32_e32 v16, v26, v75
	v_lshlrev_b64_e32 v[60:61], 3, v[60:61]
	s_wait_alu 0xfffd
	v_add_co_ci_u32_e32 v51, vcc_lo, v96, v51, vcc_lo
	v_mul_f32_e32 v53, 0x3d64c772, v53
	v_sub_f32_e32 v23, v25, v23
	v_dual_sub_f32 v25, v75, v27 :: v_dual_add_f32 v0, v13, v32
	v_sub_f32_e32 v27, v27, v26
	v_add_f32_e32 v26, v26, v42
	v_dual_sub_f32 v52, v3, v1 :: v_dual_sub_f32 v5, v5, v3
	v_mul_f32_e32 v3, 0xbf08b237, v21
	v_mul_f32_e32 v21, 0x3d64c772, v31
	;; [unrolled: 1-line block ×4, first 2 shown]
	v_sub_f32_e32 v44, v76, v29
	v_sub_f32_e32 v55, v14, v17
	v_fmamk_f32 v30, v30, 0x3f4a47b2, v21
	v_dual_add_f32 v4, v4, v7 :: v_dual_mul_f32 v7, 0x3f5ff5aa, v22
	v_fma_f32 v21, 0x3f3bfb3b, v23, -v21
	v_mul_f32_e32 v42, 0x3d64c772, v44
	v_sub_f32_e32 v56, v17, v15
	v_fmamk_f32 v58, v19, 0x3eae86e6, v3
	v_fma_f32 v13, 0xbeae86e6, v19, -v7
	v_fma_f32 v7, 0xbf3bfb3b, v23, -v20
	v_fma_f32 v23, 0x3f5ff5aa, v6, -v34
	s_delay_alu instid0(VALU_DEP_4) | instskip(SKIP_2) | instid1(VALU_DEP_4)
	v_dual_sub_f32 v43, v28, v76 :: v_dual_fmac_f32 v58, 0x3ee1c552, v18
	v_fma_f32 v22, 0x3f5ff5aa, v22, -v3
	v_add_f32_e32 v17, v17, v15
	v_fmac_f32_e32 v23, 0x3ee1c552, v4
	v_mul_f32_e32 v35, 0x3f5ff5aa, v6
	v_fmamk_f32 v59, v36, 0x3eae86e6, v34
	v_fma_f32 v6, 0x3f3bfb3b, v2, -v31
	v_fmac_f32_e32 v22, 0x3ee1c552, v18
	v_mul_f32_e32 v56, 0xbf08b237, v56
	v_fma_f32 v20, 0xbeae86e6, v36, -v35
	v_dual_add_f32 v45, v28, v29 :: v_dual_sub_f32 v28, v29, v28
	v_fmac_f32_e32 v59, 0x3ee1c552, v4
	s_delay_alu instid0(VALU_DEP_3) | instskip(NEXT) | instid1(VALU_DEP_3)
	v_dual_fmac_f32 v13, 0x3ee1c552, v18 :: v_dual_fmac_f32 v20, 0x3ee1c552, v4
	v_add_f32_e32 v44, v76, v45
	v_mul_f32_e32 v29, 0x3f4a47b2, v33
	v_fmamk_f32 v33, v33, 0x3f4a47b2, v31
	v_dual_sub_f32 v15, v15, v14 :: v_dual_add_f32 v14, v14, v17
	s_delay_alu instid0(VALU_DEP_4) | instskip(NEXT) | instid1(VALU_DEP_4)
	v_add_f32_e32 v3, v94, v44
	v_fma_f32 v19, 0xbf3bfb3b, v2, -v29
	s_delay_alu instid0(VALU_DEP_3) | instskip(SKIP_1) | instid1(VALU_DEP_4)
	v_dual_add_f32 v2, v12, v54 :: v_dual_mul_f32 v57, 0x3f5ff5aa, v15
	v_fmamk_f32 v34, v52, 0x3f4a47b2, v53
	v_fmamk_f32 v4, v44, 0xbf955555, v3
	v_mul_f32_e32 v17, 0x3f5ff5aa, v27
	s_delay_alu instid0(VALU_DEP_4)
	v_fmamk_f32 v18, v54, 0xbf955555, v2
	v_mul_f32_e32 v37, 0x3f4a47b2, v43
	v_mul_f32_e32 v25, 0xbf08b237, v25
	;; [unrolled: 1-line block ×3, first 2 shown]
	v_fma_f32 v36, 0xbeae86e6, v16, -v17
	v_add_f32_e32 v1, v82, v24
	v_fma_f32 v12, 0xbf3bfb3b, v28, -v37
	v_fma_f32 v17, 0x3f3bfb3b, v28, -v42
	;; [unrolled: 1-line block ×3, first 2 shown]
	v_fmac_f32_e32 v36, 0x3ee1c552, v26
	v_fmamk_f32 v15, v24, 0xbf955555, v1
	v_fmamk_f32 v24, v32, 0xbf955555, v0
	v_fma_f32 v37, 0xbeae86e6, v55, -v57
	v_fmac_f32_e32 v28, 0x3ee1c552, v14
	v_fmamk_f32 v35, v55, 0x3eae86e6, v56
	global_store_b64 v[8:9], v[2:3], off
	v_dual_add_f32 v8, v21, v15 :: v_dual_fmac_f32 v37, 0x3ee1c552, v14
	v_add_f32_e32 v19, v19, v24
	v_dual_fmac_f32 v35, 0x3ee1c552, v14 :: v_dual_add_f32 v14, v30, v15
	v_dual_add_f32 v30, v34, v18 :: v_dual_fmamk_f32 v29, v16, 0x3eae86e6, v25
	v_fma_f32 v25, 0x3f5ff5aa, v27, -v25
	v_add_f32_e32 v27, v7, v15
	v_add_f32_e32 v15, v6, v24
	v_fma_f32 v16, 0xbf3bfb3b, v5, -v45
	v_sub_f32_e32 v7, v8, v22
	v_add_f32_e32 v9, v22, v8
	s_delay_alu instid0(VALU_DEP_4) | instskip(SKIP_4) | instid1(VALU_DEP_4)
	v_dual_fmac_f32 v29, 0x3ee1c552, v26 :: v_dual_sub_f32 v8, v15, v23
	v_fma_f32 v5, 0x3f3bfb3b, v5, -v53
	v_add_f32_e32 v32, v16, v18
	v_dual_fmac_f32 v25, 0x3ee1c552, v26 :: v_dual_add_f32 v26, v33, v24
	v_add_f32_e32 v33, v17, v4
	v_dual_add_f32 v18, v5, v18 :: v_dual_fmamk_f32 v31, v43, 0x3f4a47b2, v42
	v_add_co_u32 v66, vcc_lo, v95, v66
	v_add_f32_e32 v3, v58, v14
	s_delay_alu instid0(VALU_DEP_3) | instskip(NEXT) | instid1(VALU_DEP_4)
	v_sub_f32_e32 v22, v18, v28
	v_add_f32_e32 v24, v31, v4
	v_add_f32_e32 v31, v12, v4
	v_dual_add_f32 v5, v13, v27 :: v_dual_sub_f32 v4, v19, v20
	v_add_f32_e32 v6, v23, v15
	v_dual_sub_f32 v13, v27, v13 :: v_dual_add_f32 v12, v20, v19
	v_sub_f32_e32 v15, v14, v58
	v_sub_f32_e32 v27, v24, v29
	v_add_f32_e32 v20, v28, v18
	v_sub_f32_e32 v18, v32, v37
	v_sub_f32_e32 v2, v26, v59
	v_add_f32_e32 v14, v59, v26
	v_dual_add_f32 v26, v35, v30 :: v_dual_add_f32 v17, v29, v24
	v_sub_f32_e32 v21, v33, v25
	v_add_f32_e32 v23, v25, v33
	v_sub_f32_e32 v25, v31, v36
	v_add_f32_e32 v24, v37, v32
	s_wait_alu 0xfffd
	v_add_co_ci_u32_e32 v67, vcc_lo, v96, v67, vcc_lo
	v_add_co_u32 v60, vcc_lo, v95, v60
	v_add_f32_e32 v19, v36, v31
	s_wait_alu 0xfffd
	v_add_co_ci_u32_e32 v61, vcc_lo, v96, v61, vcc_lo
	v_sub_f32_e32 v16, v30, v35
	s_clause 0x7
	global_store_b64 v[10:11], v[26:27], off
	global_store_b64 v[38:39], v[24:25], off
	;; [unrolled: 1-line block ×8, first 2 shown]
	v_mad_co_u64_u32 v[0:1], null, s9, v85, v[72:73]
	v_mov_b32_e32 v1, v74
	v_lshlrev_b64_e32 v[62:63], 3, v[62:63]
	v_lshlrev_b64_e32 v[14:15], 3, v[64:65]
	s_delay_alu instid0(VALU_DEP_3) | instskip(NEXT) | instid1(VALU_DEP_3)
	v_mad_co_u64_u32 v[16:17], null, s9, v86, v[1:2]
	v_add_co_u32 v10, vcc_lo, v95, v62
	v_lshlrev_b64_e32 v[17:18], 3, v[69:70]
	v_mov_b32_e32 v72, v0
	s_wait_alu 0xfffd
	v_add_co_ci_u32_e32 v11, vcc_lo, v96, v63, vcc_lo
	v_add_co_u32 v0, vcc_lo, v95, v14
	v_mov_b32_e32 v74, v16
	s_wait_alu 0xfffd
	v_add_co_ci_u32_e32 v1, vcc_lo, v96, v15, vcc_lo
	v_lshlrev_b64_e32 v[14:15], 3, v[71:72]
	v_add_co_u32 v16, vcc_lo, v95, v17
	s_wait_alu 0xfffd
	v_add_co_ci_u32_e32 v17, vcc_lo, v96, v18, vcc_lo
	v_lshlrev_b64_e32 v[18:19], 3, v[73:74]
	s_delay_alu instid0(VALU_DEP_4) | instskip(SKIP_2) | instid1(VALU_DEP_3)
	v_add_co_u32 v14, vcc_lo, v95, v14
	s_wait_alu 0xfffd
	v_add_co_ci_u32_e32 v15, vcc_lo, v96, v15, vcc_lo
	v_add_co_u32 v18, vcc_lo, v95, v18
	s_wait_alu 0xfffd
	v_add_co_ci_u32_e32 v19, vcc_lo, v96, v19, vcc_lo
	s_clause 0x4
	global_store_b64 v[10:11], v[12:13], off
	global_store_b64 v[0:1], v[8:9], off
	;; [unrolled: 1-line block ×5, first 2 shown]
.LBB0_22:
	s_nop 0
	s_sendmsg sendmsg(MSG_DEALLOC_VGPRS)
	s_endpgm
	.section	.rodata,"a",@progbits
	.p2align	6, 0x0
	.amdhsa_kernel fft_rtc_fwd_len1078_factors_2_11_7_7_wgs_231_tpt_77_halfLds_sp_ip_CI_sbrr_dirReg
		.amdhsa_group_segment_fixed_size 0
		.amdhsa_private_segment_fixed_size 0
		.amdhsa_kernarg_size 88
		.amdhsa_user_sgpr_count 2
		.amdhsa_user_sgpr_dispatch_ptr 0
		.amdhsa_user_sgpr_queue_ptr 0
		.amdhsa_user_sgpr_kernarg_segment_ptr 1
		.amdhsa_user_sgpr_dispatch_id 0
		.amdhsa_user_sgpr_private_segment_size 0
		.amdhsa_wavefront_size32 1
		.amdhsa_uses_dynamic_stack 0
		.amdhsa_enable_private_segment 0
		.amdhsa_system_sgpr_workgroup_id_x 1
		.amdhsa_system_sgpr_workgroup_id_y 0
		.amdhsa_system_sgpr_workgroup_id_z 0
		.amdhsa_system_sgpr_workgroup_info 0
		.amdhsa_system_vgpr_workitem_id 0
		.amdhsa_next_free_vgpr 125
		.amdhsa_next_free_sgpr 35
		.amdhsa_reserve_vcc 1
		.amdhsa_float_round_mode_32 0
		.amdhsa_float_round_mode_16_64 0
		.amdhsa_float_denorm_mode_32 3
		.amdhsa_float_denorm_mode_16_64 3
		.amdhsa_fp16_overflow 0
		.amdhsa_workgroup_processor_mode 1
		.amdhsa_memory_ordered 1
		.amdhsa_forward_progress 0
		.amdhsa_round_robin_scheduling 0
		.amdhsa_exception_fp_ieee_invalid_op 0
		.amdhsa_exception_fp_denorm_src 0
		.amdhsa_exception_fp_ieee_div_zero 0
		.amdhsa_exception_fp_ieee_overflow 0
		.amdhsa_exception_fp_ieee_underflow 0
		.amdhsa_exception_fp_ieee_inexact 0
		.amdhsa_exception_int_div_zero 0
	.end_amdhsa_kernel
	.text
.Lfunc_end0:
	.size	fft_rtc_fwd_len1078_factors_2_11_7_7_wgs_231_tpt_77_halfLds_sp_ip_CI_sbrr_dirReg, .Lfunc_end0-fft_rtc_fwd_len1078_factors_2_11_7_7_wgs_231_tpt_77_halfLds_sp_ip_CI_sbrr_dirReg
                                        ; -- End function
	.section	.AMDGPU.csdata,"",@progbits
; Kernel info:
; codeLenInByte = 13028
; NumSgprs: 37
; NumVgprs: 125
; ScratchSize: 0
; MemoryBound: 0
; FloatMode: 240
; IeeeMode: 1
; LDSByteSize: 0 bytes/workgroup (compile time only)
; SGPRBlocks: 4
; VGPRBlocks: 15
; NumSGPRsForWavesPerEU: 37
; NumVGPRsForWavesPerEU: 125
; Occupancy: 10
; WaveLimiterHint : 1
; COMPUTE_PGM_RSRC2:SCRATCH_EN: 0
; COMPUTE_PGM_RSRC2:USER_SGPR: 2
; COMPUTE_PGM_RSRC2:TRAP_HANDLER: 0
; COMPUTE_PGM_RSRC2:TGID_X_EN: 1
; COMPUTE_PGM_RSRC2:TGID_Y_EN: 0
; COMPUTE_PGM_RSRC2:TGID_Z_EN: 0
; COMPUTE_PGM_RSRC2:TIDIG_COMP_CNT: 0
	.text
	.p2alignl 7, 3214868480
	.fill 96, 4, 3214868480
	.type	__hip_cuid_a8ffb70490ec0b40,@object ; @__hip_cuid_a8ffb70490ec0b40
	.section	.bss,"aw",@nobits
	.globl	__hip_cuid_a8ffb70490ec0b40
__hip_cuid_a8ffb70490ec0b40:
	.byte	0                               ; 0x0
	.size	__hip_cuid_a8ffb70490ec0b40, 1

	.ident	"AMD clang version 19.0.0git (https://github.com/RadeonOpenCompute/llvm-project roc-6.4.0 25133 c7fe45cf4b819c5991fe208aaa96edf142730f1d)"
	.section	".note.GNU-stack","",@progbits
	.addrsig
	.addrsig_sym __hip_cuid_a8ffb70490ec0b40
	.amdgpu_metadata
---
amdhsa.kernels:
  - .args:
      - .actual_access:  read_only
        .address_space:  global
        .offset:         0
        .size:           8
        .value_kind:     global_buffer
      - .offset:         8
        .size:           8
        .value_kind:     by_value
      - .actual_access:  read_only
        .address_space:  global
        .offset:         16
        .size:           8
        .value_kind:     global_buffer
      - .actual_access:  read_only
        .address_space:  global
        .offset:         24
        .size:           8
        .value_kind:     global_buffer
      - .offset:         32
        .size:           8
        .value_kind:     by_value
      - .actual_access:  read_only
        .address_space:  global
        .offset:         40
        .size:           8
        .value_kind:     global_buffer
      - .actual_access:  read_only
        .address_space:  global
        .offset:         48
        .size:           8
        .value_kind:     global_buffer
      - .offset:         56
        .size:           4
        .value_kind:     by_value
      - .actual_access:  read_only
        .address_space:  global
        .offset:         64
        .size:           8
        .value_kind:     global_buffer
      - .actual_access:  read_only
        .address_space:  global
        .offset:         72
        .size:           8
        .value_kind:     global_buffer
      - .address_space:  global
        .offset:         80
        .size:           8
        .value_kind:     global_buffer
    .group_segment_fixed_size: 0
    .kernarg_segment_align: 8
    .kernarg_segment_size: 88
    .language:       OpenCL C
    .language_version:
      - 2
      - 0
    .max_flat_workgroup_size: 231
    .name:           fft_rtc_fwd_len1078_factors_2_11_7_7_wgs_231_tpt_77_halfLds_sp_ip_CI_sbrr_dirReg
    .private_segment_fixed_size: 0
    .sgpr_count:     37
    .sgpr_spill_count: 0
    .symbol:         fft_rtc_fwd_len1078_factors_2_11_7_7_wgs_231_tpt_77_halfLds_sp_ip_CI_sbrr_dirReg.kd
    .uniform_work_group_size: 1
    .uses_dynamic_stack: false
    .vgpr_count:     125
    .vgpr_spill_count: 0
    .wavefront_size: 32
    .workgroup_processor_mode: 1
amdhsa.target:   amdgcn-amd-amdhsa--gfx1201
amdhsa.version:
  - 1
  - 2
...

	.end_amdgpu_metadata
